;; amdgpu-corpus repo=ROCm/rocFFT kind=compiled arch=gfx1201 opt=O3
	.text
	.amdgcn_target "amdgcn-amd-amdhsa--gfx1201"
	.amdhsa_code_object_version 6
	.protected	bluestein_single_fwd_len1716_dim1_dp_op_CI_CI ; -- Begin function bluestein_single_fwd_len1716_dim1_dp_op_CI_CI
	.globl	bluestein_single_fwd_len1716_dim1_dp_op_CI_CI
	.p2align	8
	.type	bluestein_single_fwd_len1716_dim1_dp_op_CI_CI,@function
bluestein_single_fwd_len1716_dim1_dp_op_CI_CI: ; @bluestein_single_fwd_len1716_dim1_dp_op_CI_CI
; %bb.0:
	s_load_b128 s[8:11], s[0:1], 0x28
	v_mul_u32_u24_e32 v1, 0x1a5, v0
	s_mov_b32 s2, exec_lo
	v_mov_b32_e32 v4, 0
	s_delay_alu instid0(VALU_DEP_2) | instskip(NEXT) | instid1(VALU_DEP_1)
	v_lshrrev_b32_e32 v1, 16, v1
	v_add_nc_u32_e32 v3, ttmp9, v1
	s_delay_alu instid0(VALU_DEP_1)
	v_mov_b32_e32 v2, v3
	scratch_store_b64 off, v[2:3], off offset:4 ; 8-byte Folded Spill
	s_wait_kmcnt 0x0
	v_cmpx_gt_u64_e64 s[8:9], v[3:4]
	s_cbranch_execz .LBB0_31
; %bb.1:
	s_clause 0x1
	s_load_b64 s[8:9], s[0:1], 0x0
	s_load_b64 s[12:13], s[0:1], 0x38
	v_mul_lo_u16 v1, 0x9c, v1
	s_delay_alu instid0(VALU_DEP_1) | instskip(NEXT) | instid1(VALU_DEP_1)
	v_sub_nc_u16 v0, v0, v1
	v_and_b32_e32 v1, 0xffff, v0
	v_cmp_gt_u16_e32 vcc_lo, 0x84, v0
	s_delay_alu instid0(VALU_DEP_2)
	v_lshlrev_b32_e32 v255, 4, v1
	scratch_store_b32 off, v1, off          ; 4-byte Folded Spill
	s_and_saveexec_b32 s3, vcc_lo
	s_cbranch_execz .LBB0_3
; %bb.2:
	s_clause 0x1
	scratch_load_b64 v[0:1], off, off offset:4
	scratch_load_b32 v5, off, off
	s_load_b64 s[4:5], s[0:1], 0x18
	s_wait_kmcnt 0x0
	s_load_b128 s[4:7], s[4:5], 0x0
	s_wait_loadcnt 0x0
	s_wait_kmcnt 0x0
	v_mad_co_u64_u32 v[16:17], null, s4, v5, 0
	s_delay_alu instid0(VALU_DEP_1) | instskip(NEXT) | instid1(VALU_DEP_1)
	v_dual_mov_b32 v3, v0 :: v_dual_mov_b32 v2, v17
	v_mad_co_u64_u32 v[0:1], null, s6, v3, 0
	s_delay_alu instid0(VALU_DEP_1) | instskip(NEXT) | instid1(VALU_DEP_1)
	v_mad_co_u64_u32 v[3:4], null, s7, v3, v[1:2]
	v_mad_co_u64_u32 v[4:5], null, s5, v5, v[2:3]
	v_mov_b32_e32 v1, v3
	s_mul_u64 s[4:5], s[4:5], 0x840
	s_delay_alu instid0(VALU_DEP_1) | instskip(NEXT) | instid1(VALU_DEP_3)
	v_lshlrev_b64_e32 v[18:19], 4, v[0:1]
	v_mov_b32_e32 v17, v4
	s_clause 0x3
	global_load_b128 v[0:3], v255, s[8:9]
	global_load_b128 v[4:7], v255, s[8:9] offset:2112
	global_load_b128 v[8:11], v255, s[8:9] offset:4224
	;; [unrolled: 1-line block ×3, first 2 shown]
	v_add_co_u32 v26, s2, s10, v18
	v_lshlrev_b64_e32 v[24:25], 4, v[16:17]
	v_add_co_ci_u32_e64 v27, s2, s11, v19, s2
	s_clause 0x1
	global_load_b128 v[16:19], v255, s[8:9] offset:8448
	global_load_b128 v[20:23], v255, s[8:9] offset:10560
	v_add_co_u32 v40, s2, v26, v24
	s_wait_alu 0xf1ff
	v_add_co_ci_u32_e64 v41, s2, v27, v25, s2
	s_clause 0x1
	global_load_b128 v[24:27], v255, s[8:9] offset:12672
	global_load_b128 v[28:31], v255, s[8:9] offset:14784
	s_wait_alu 0xfffe
	v_add_co_u32 v44, s2, v40, s4
	s_wait_alu 0xf1ff
	v_add_co_ci_u32_e64 v45, s2, s5, v41, s2
	s_clause 0x1
	global_load_b128 v[32:35], v255, s[8:9] offset:16896
	global_load_b128 v[36:39], v255, s[8:9] offset:19008
	v_add_co_u32 v48, s2, v44, s4
	s_wait_alu 0xf1ff
	v_add_co_ci_u32_e64 v49, s2, s5, v45, s2
	s_clause 0x1
	global_load_b128 v[40:43], v[40:41], off
	global_load_b128 v[44:47], v[44:45], off
	v_add_co_u32 v52, s2, v48, s4
	s_wait_alu 0xf1ff
	v_add_co_ci_u32_e64 v53, s2, s5, v49, s2
	s_delay_alu instid0(VALU_DEP_2) | instskip(SKIP_1) | instid1(VALU_DEP_2)
	v_add_co_u32 v56, s2, v52, s4
	s_wait_alu 0xf1ff
	v_add_co_ci_u32_e64 v57, s2, s5, v53, s2
	s_clause 0x1
	global_load_b128 v[48:51], v[48:49], off
	global_load_b128 v[52:55], v[52:53], off
	v_add_co_u32 v60, s2, v56, s4
	s_wait_alu 0xf1ff
	v_add_co_ci_u32_e64 v61, s2, s5, v57, s2
	global_load_b128 v[56:59], v[56:57], off
	v_add_co_u32 v64, s2, v60, s4
	s_wait_alu 0xf1ff
	v_add_co_ci_u32_e64 v65, s2, s5, v61, s2
	global_load_b128 v[60:63], v[60:61], off
	v_add_co_u32 v68, s2, v64, s4
	s_wait_alu 0xf1ff
	v_add_co_ci_u32_e64 v69, s2, s5, v65, s2
	global_load_b128 v[64:67], v[64:65], off
	v_add_co_u32 v72, s2, v68, s4
	s_wait_alu 0xf1ff
	v_add_co_ci_u32_e64 v73, s2, s5, v69, s2
	global_load_b128 v[68:71], v[68:69], off
	v_add_co_u32 v76, s2, v72, s4
	s_wait_alu 0xf1ff
	v_add_co_ci_u32_e64 v77, s2, s5, v73, s2
	global_load_b128 v[72:75], v[72:73], off
	v_add_co_u32 v80, s2, v76, s4
	s_wait_alu 0xf1ff
	v_add_co_ci_u32_e64 v81, s2, s5, v77, s2
	global_load_b128 v[76:79], v[76:77], off
	v_add_co_u32 v92, s2, v80, s4
	s_wait_alu 0xf1ff
	v_add_co_ci_u32_e64 v93, s2, s5, v81, s2
	global_load_b128 v[80:83], v[80:81], off
	v_add_co_u32 v100, s2, v92, s4
	s_wait_alu 0xf1ff
	v_add_co_ci_u32_e64 v101, s2, s5, v93, s2
	s_clause 0x1
	global_load_b128 v[84:87], v255, s[8:9] offset:21120
	global_load_b128 v[88:91], v255, s[8:9] offset:23232
	global_load_b128 v[92:95], v[92:93], off
	global_load_b128 v[96:99], v255, s[8:9] offset:25344
	global_load_b128 v[100:103], v[100:101], off
	s_wait_loadcnt 0xf
	v_mul_f64_e32 v[104:105], v[42:43], v[2:3]
	v_mul_f64_e32 v[2:3], v[40:41], v[2:3]
	s_wait_loadcnt 0xe
	v_mul_f64_e32 v[106:107], v[46:47], v[6:7]
	v_mul_f64_e32 v[6:7], v[44:45], v[6:7]
	;; [unrolled: 3-line block ×10, first 2 shown]
	v_fma_f64 v[38:39], v[40:41], v[0:1], v[104:105]
	v_fma_f64 v[40:41], v[42:43], v[0:1], -v[2:3]
	v_fma_f64 v[0:1], v[44:45], v[4:5], v[106:107]
	v_fma_f64 v[2:3], v[46:47], v[4:5], -v[6:7]
	s_wait_loadcnt 0x4
	v_mul_f64_e32 v[126:127], v[82:83], v[86:87]
	v_mul_f64_e32 v[86:87], v[80:81], v[86:87]
	s_wait_loadcnt 0x2
	v_mul_f64_e32 v[128:129], v[94:95], v[90:91]
	v_mul_f64_e32 v[90:91], v[92:93], v[90:91]
	;; [unrolled: 3-line block ×3, first 2 shown]
	v_fma_f64 v[4:5], v[48:49], v[8:9], v[108:109]
	v_fma_f64 v[6:7], v[50:51], v[8:9], -v[10:11]
	v_fma_f64 v[8:9], v[52:53], v[12:13], v[110:111]
	v_fma_f64 v[10:11], v[54:55], v[12:13], -v[14:15]
	;; [unrolled: 2-line block ×11, first 2 shown]
	ds_store_b128 v255, v[38:41]
	ds_store_b128 v255, v[0:3] offset:2112
	ds_store_b128 v255, v[4:7] offset:4224
	;; [unrolled: 1-line block ×12, first 2 shown]
.LBB0_3:
	s_or_b32 exec_lo, exec_lo, s3
	global_wb scope:SCOPE_SE
	s_wait_storecnt_dscnt 0x0
	s_wait_kmcnt 0x0
	s_barrier_signal -1
	s_barrier_wait -1
	global_inv scope:SCOPE_SE
                                        ; implicit-def: $vgpr24_vgpr25
                                        ; implicit-def: $vgpr44_vgpr45
                                        ; implicit-def: $vgpr48_vgpr49
                                        ; implicit-def: $vgpr56_vgpr57
                                        ; implicit-def: $vgpr60_vgpr61
                                        ; implicit-def: $vgpr52_vgpr53
                                        ; implicit-def: $vgpr40_vgpr41
                                        ; implicit-def: $vgpr36_vgpr37
                                        ; implicit-def: $vgpr32_vgpr33
                                        ; implicit-def: $vgpr28_vgpr29
                                        ; implicit-def: $vgpr20_vgpr21
                                        ; implicit-def: $vgpr16_vgpr17
                                        ; implicit-def: $vgpr12_vgpr13
	s_and_saveexec_b32 s2, vcc_lo
	s_cbranch_execz .LBB0_5
; %bb.4:
	ds_load_b128 v[24:27], v255
	ds_load_b128 v[44:47], v255 offset:2112
	ds_load_b128 v[48:51], v255 offset:4224
	;; [unrolled: 1-line block ×12, first 2 shown]
.LBB0_5:
	s_wait_alu 0xfffe
	s_or_b32 exec_lo, exec_lo, s2
	s_wait_dscnt 0x0
	v_add_f64_e64 v[82:83], v[46:47], -v[14:15]
	v_add_f64_e64 v[68:69], v[44:45], -v[12:13]
	s_mov_b32 s6, 0x4267c47c
	s_mov_b32 s7, 0xbfddbe06
	v_add_f64_e32 v[66:67], v[44:45], v[12:13]
	v_add_f64_e32 v[86:87], v[46:47], v[14:15]
	v_add_f64_e64 v[76:77], v[50:51], -v[18:19]
	v_add_f64_e64 v[64:65], v[48:49], -v[16:17]
	s_mov_b32 s14, 0x42a4c3d2
	s_mov_b32 s16, 0x66966769
	;; [unrolled: 1-line block ×6, first 2 shown]
	v_add_f64_e32 v[70:71], v[48:49], v[16:17]
	v_add_f64_e32 v[96:97], v[50:51], v[18:19]
	v_add_f64_e64 v[162:163], v[58:59], -v[22:23]
	v_add_f64_e64 v[106:107], v[56:57], -v[20:21]
	s_mov_b32 s10, 0x1ea71119
	s_mov_b32 s18, 0xebaa3ed8
	s_mov_b32 s22, 0x2ef20147
	s_mov_b32 s28, 0x4bc48dbf
	s_mov_b32 s11, 0x3fe22d96
	s_mov_b32 s19, 0x3fbedb7d
	s_mov_b32 s23, 0xbfedeba7
	s_mov_b32 s29, 0xbfcea1e5
	v_add_f64_e32 v[120:121], v[56:57], v[20:21]
	v_add_f64_e32 v[177:178], v[58:59], v[22:23]
	v_add_f64_e64 v[72:73], v[60:61], -v[28:29]
	v_add_f64_e64 v[108:109], v[62:63], -v[30:31]
	s_mov_b32 s24, 0xb2365da1
	s_mov_b32 s30, 0x93053d00
	;; [unrolled: 1-line block ×6, first 2 shown]
	v_add_f64_e32 v[78:79], v[60:61], v[28:29]
	v_add_f64_e32 v[152:153], v[62:63], v[30:31]
	s_wait_alu 0xfffe
	v_mul_f64_e32 v[94:95], s[6:7], v[82:83]
	v_mul_f64_e32 v[98:99], s[6:7], v[68:69]
	;; [unrolled: 1-line block ×12, first 2 shown]
	v_add_f64_e64 v[84:85], v[52:53], -v[32:33]
	v_add_f64_e64 v[175:176], v[54:55], -v[34:35]
	s_mov_b32 s38, 0x24c2f84
	s_mov_b32 s39, 0x3fe5384d
	v_mul_f64_e32 v[122:123], s[16:17], v[162:163]
	v_mul_f64_e32 v[126:127], s[16:17], v[106:107]
	;; [unrolled: 1-line block ×5, first 2 shown]
	s_mov_b32 s43, 0xbfe5384d
	s_mov_b32 s42, s38
	v_add_f64_e32 v[179:180], v[54:55], v[34:35]
	v_add_f64_e64 v[181:182], v[42:43], -v[38:39]
	s_mov_b32 s40, 0xd0032e0c
	s_mov_b32 s41, 0xbfe7f3cc
	v_mul_f64_e32 v[130:131], s[28:29], v[162:163]
	v_mul_f64_e32 v[136:137], s[22:23], v[72:73]
	;; [unrolled: 1-line block ×3, first 2 shown]
	s_mov_b32 s35, 0x3fddbe06
	s_mov_b32 s34, s6
	v_mul_f64_e32 v[140:141], s[38:39], v[108:109]
	v_mul_f64_e32 v[144:145], s[38:39], v[72:73]
	;; [unrolled: 1-line block ×4, first 2 shown]
	s_mov_b32 s37, 0x3fefc445
	s_mov_b32 s36, s16
	v_fma_f64 v[0:1], v[66:67], s[20:21], v[94:95]
	v_fma_f64 v[2:3], v[86:87], s[20:21], -v[98:99]
	v_fma_f64 v[6:7], v[86:87], s[10:11], -v[112:113]
	v_fma_f64 v[8:9], v[66:67], s[18:19], v[114:115]
	v_fma_f64 v[10:11], v[86:87], s[18:19], -v[116:117]
	v_fma_f64 v[4:5], v[66:67], s[10:11], v[104:105]
	v_fma_f64 v[102:103], v[70:71], s[10:11], v[74:75]
	v_fma_f64 v[110:111], v[96:97], s[10:11], -v[80:81]
	v_fma_f64 v[124:125], v[96:97], s[24:25], -v[92:93]
	v_fma_f64 v[128:129], v[70:71], s[30:31], v[90:91]
	v_fma_f64 v[134:135], v[96:97], s[30:31], -v[100:101]
	v_fma_f64 v[118:119], v[70:71], s[24:25], v[88:89]
	v_mul_f64_e32 v[158:159], s[42:43], v[84:85]
	v_mul_f64_e32 v[154:155], s[42:43], v[175:176]
	;; [unrolled: 1-line block ×4, first 2 shown]
	v_fma_f64 v[138:139], v[120:121], s[18:19], v[122:123]
	v_fma_f64 v[148:149], v[177:178], s[18:19], -v[126:127]
	v_fma_f64 v[183:184], v[177:178], s[30:31], -v[142:143]
	v_fma_f64 v[185:186], v[120:121], s[24:25], v[160:161]
	v_fma_f64 v[187:188], v[177:178], s[24:25], -v[169:170]
	v_mul_f64_e32 v[171:172], s[14:15], v[175:176]
	v_mul_f64_e32 v[173:174], s[14:15], v[84:85]
	v_fma_f64 v[156:157], v[120:121], s[30:31], v[130:131]
	v_fma_f64 v[191:192], v[152:153], s[24:25], -v[136:137]
	v_fma_f64 v[189:190], v[78:79], s[24:25], v[132:133]
	v_fma_f64 v[193:194], v[78:79], s[40:41], v[140:141]
	v_fma_f64 v[195:196], v[152:153], s[40:41], -v[144:145]
	v_fma_f64 v[197:198], v[78:79], s[20:21], v[146:147]
	v_fma_f64 v[199:200], v[152:153], s[20:21], -v[150:151]
	v_add_f64_e32 v[0:1], v[24:25], v[0:1]
	v_add_f64_e32 v[2:3], v[26:27], v[2:3]
	;; [unrolled: 1-line block ×6, first 2 shown]
	v_fma_f64 v[203:204], v[179:180], s[18:19], -v[167:168]
	v_fma_f64 v[207:208], v[179:180], s[10:11], -v[173:174]
	v_add_f64_e32 v[0:1], v[102:103], v[0:1]
	v_add_f64_e32 v[2:3], v[110:111], v[2:3]
	;; [unrolled: 1-line block ×6, first 2 shown]
	v_add_f64_e64 v[102:103], v[40:41], -v[36:37]
	v_add_f64_e32 v[4:5], v[118:119], v[4:5]
	v_add_f64_e32 v[118:119], v[40:41], v[36:37]
	v_mul_f64_e32 v[124:125], s[28:29], v[181:182]
	v_mul_f64_e32 v[134:135], s[34:35], v[181:182]
	v_add_f64_e32 v[0:1], v[138:139], v[0:1]
	v_add_f64_e32 v[2:3], v[148:149], v[2:3]
	;; [unrolled: 1-line block ×6, first 2 shown]
	v_mul_f64_e32 v[128:129], s[28:29], v[102:103]
	v_fma_f64 v[185:186], v[110:111], s[40:41], v[154:155]
	v_fma_f64 v[187:188], v[179:180], s[40:41], -v[158:159]
	v_add_f64_e32 v[4:5], v[156:157], v[4:5]
	v_mul_f64_e32 v[138:139], s[34:35], v[102:103]
	v_mul_f64_e32 v[148:149], s[42:43], v[181:182]
	;; [unrolled: 1-line block ×3, first 2 shown]
	v_fma_f64 v[201:202], v[110:111], s[18:19], v[165:166]
	v_fma_f64 v[205:206], v[110:111], s[10:11], v[171:172]
	v_add_f64_e32 v[0:1], v[189:190], v[0:1]
	v_add_f64_e32 v[2:3], v[191:192], v[2:3]
	v_fma_f64 v[189:190], v[118:119], s[30:31], v[124:125]
	v_add_f64_e32 v[6:7], v[195:196], v[6:7]
	v_add_f64_e32 v[8:9], v[197:198], v[8:9]
	;; [unrolled: 1-line block ×3, first 2 shown]
	v_fma_f64 v[191:192], v[183:184], s[30:31], -v[128:129]
	v_add_f64_e32 v[4:5], v[193:194], v[4:5]
	v_fma_f64 v[193:194], v[118:119], s[20:21], v[134:135]
	v_fma_f64 v[195:196], v[183:184], s[20:21], -v[138:139]
	v_fma_f64 v[197:198], v[118:119], s[40:41], v[148:149]
	v_fma_f64 v[199:200], v[183:184], s[40:41], -v[156:157]
	v_add_f64_e32 v[0:1], v[185:186], v[0:1]
	v_add_f64_e32 v[2:3], v[187:188], v[2:3]
	;; [unrolled: 1-line block ×12, first 2 shown]
	scratch_store_b128 off, v[0:3], off offset:12 ; 16-byte Folded Spill
	s_clause 0x1
	s_load_b64 s[4:5], s[0:1], 0x20
	s_load_b64 s[2:3], s[0:1], 0x8
	scratch_load_b32 v0, off, off           ; 4-byte Folded Reload
	s_wait_loadcnt 0x0
	v_mul_lo_u16 v0, v0, 13
	scratch_store_b32 off, v0, off offset:28 ; 4-byte Folded Spill
	global_wb scope:SCOPE_SE
	s_wait_storecnt 0x0
	s_wait_kmcnt 0x0
	s_barrier_signal -1
	s_barrier_wait -1
	global_inv scope:SCOPE_SE
	s_and_saveexec_b32 s33, vcc_lo
	s_cbranch_execz .LBB0_7
; %bb.6:
	v_add_f64_e32 v[44:45], v[24:25], v[44:45]
	v_add_f64_e32 v[46:47], v[26:27], v[46:47]
	scratch_load_b32 v0, off, off offset:28 ; 4-byte Folded Reload
	v_mul_f64_e32 v[185:186], s[18:19], v[66:67]
	v_mul_f64_e32 v[187:188], s[18:19], v[86:87]
	;; [unrolled: 1-line block ×4, first 2 shown]
	s_mov_b32 s45, 0x3fcea1e5
	s_mov_b32 s44, s28
	v_mul_f64_e32 v[197:198], s[24:25], v[70:71]
	v_mul_f64_e32 v[199:200], s[24:25], v[96:97]
	;; [unrolled: 1-line block ×11, first 2 shown]
	s_mov_b32 s1, 0x3fea55e2
	s_mov_b32 s0, s14
	v_mul_f64_e32 v[205:206], s[18:19], v[120:121]
	v_mul_f64_e32 v[207:208], s[18:19], v[177:178]
	;; [unrolled: 1-line block ×13, first 2 shown]
	v_add_f64_e32 v[44:45], v[44:45], v[48:49]
	v_add_f64_e32 v[46:47], v[46:47], v[50:51]
	v_mul_f64_e32 v[48:49], s[20:21], v[66:67]
	v_mul_f64_e32 v[50:51], s[20:21], v[86:87]
	v_add_f64_e64 v[114:115], v[185:186], -v[114:115]
	v_fma_f64 v[245:246], v[68:69], s[38:39], v[189:190]
	v_fma_f64 v[247:248], v[66:67], s[40:41], v[191:192]
	v_fma_f64 v[189:190], v[68:69], s[42:43], v[189:190]
	v_fma_f64 v[191:192], v[66:67], s[40:41], -v[191:192]
	v_add_f64_e32 v[116:117], v[116:117], v[187:188]
	v_add_f64_e32 v[92:93], v[92:93], v[199:200]
	v_fma_f64 v[187:188], v[106:107], s[42:43], v[229:230]
	v_add_f64_e64 v[88:89], v[197:198], -v[88:89]
	v_mul_f64_e32 v[199:200], s[20:21], v[118:119]
	v_fma_f64 v[185:186], v[70:71], s[20:21], v[235:236]
	v_add_f64_e32 v[80:81], v[80:81], v[195:196]
	v_add_f64_e64 v[90:91], v[201:202], -v[90:91]
	v_add_f64_e32 v[100:101], v[100:101], v[203:204]
	v_mul_f64_e32 v[197:198], s[20:21], v[183:184]
	v_add_f64_e64 v[74:75], v[193:194], -v[74:75]
	v_mul_f64_e32 v[193:194], s[10:11], v[152:153]
	v_mul_f64_e32 v[195:196], s[18:19], v[183:184]
	v_add_f64_e64 v[122:123], v[205:206], -v[122:123]
	v_add_f64_e32 v[126:127], v[126:127], v[207:208]
	v_add_f64_e64 v[130:131], v[209:210], -v[130:131]
	v_add_f64_e32 v[142:143], v[142:143], v[211:212]
	v_mul_f64_e32 v[207:208], s[30:31], v[152:153]
	v_mul_f64_e32 v[205:206], s[16:17], v[108:109]
	v_add_f64_e32 v[169:170], v[169:170], v[215:216]
	v_add_f64_e64 v[160:161], v[213:214], -v[160:161]
	v_mul_f64_e32 v[215:216], s[10:11], v[179:180]
	v_mul_f64_e32 v[209:210], s[24:25], v[179:180]
	;; [unrolled: 1-line block ×6, first 2 shown]
	v_add_f64_e32 v[44:45], v[44:45], v[56:57]
	v_add_f64_e32 v[46:47], v[46:47], v[58:59]
	v_mul_f64_e32 v[56:57], s[10:11], v[66:67]
	v_mul_f64_e32 v[58:59], s[10:11], v[86:87]
	v_add_f64_e64 v[48:49], v[48:49], -v[94:95]
	v_mul_f64_e32 v[94:95], s[18:19], v[96:97]
	v_mul_f64_e32 v[96:97], s[40:41], v[96:97]
	v_add_f64_e32 v[50:51], v[98:99], v[50:51]
	v_mul_f64_e32 v[98:99], s[14:15], v[162:163]
	v_add_f64_e32 v[247:248], v[24:25], v[247:248]
	v_add_f64_e32 v[189:190], v[26:27], v[189:190]
	;; [unrolled: 1-line block ×8, first 2 shown]
	v_mul_f64_e32 v[60:61], s[30:31], v[86:87]
	v_mul_f64_e32 v[62:63], s[28:29], v[82:83]
	;; [unrolled: 1-line block ×4, first 2 shown]
	v_add_f64_e32 v[58:59], v[112:113], v[58:59]
	v_add_f64_e64 v[56:57], v[56:57], -v[104:105]
	v_mul_f64_e32 v[104:105], s[34:35], v[162:163]
	v_fma_f64 v[112:113], v[106:107], s[38:39], v[229:230]
	v_fma_f64 v[162:163], v[64:65], s[6:7], v[231:232]
	;; [unrolled: 1-line block ×3, first 2 shown]
	v_fma_f64 v[231:232], v[120:121], s[40:41], -v[233:234]
	v_add_f64_e32 v[44:45], v[44:45], v[52:53]
	v_add_f64_e32 v[46:47], v[46:47], v[54:55]
	v_fma_f64 v[241:242], v[68:69], s[44:45], v[60:61]
	v_fma_f64 v[243:244], v[66:67], s[30:31], v[62:63]
	;; [unrolled: 1-line block ×3, first 2 shown]
	v_fma_f64 v[62:63], v[66:67], s[30:31], -v[62:63]
	v_fma_f64 v[249:250], v[68:69], s[26:27], v[86:87]
	v_fma_f64 v[68:69], v[68:69], s[22:23], v[86:87]
	;; [unrolled: 1-line block ×3, first 2 shown]
	v_fma_f64 v[66:67], v[66:67], s[24:25], -v[82:83]
	v_add_f64_e32 v[58:59], v[26:27], v[58:59]
	v_add_f64_e32 v[56:57], v[24:25], v[56:57]
	v_mul_f64_e32 v[52:53], s[24:25], v[152:153]
	v_mul_f64_e32 v[54:55], s[40:41], v[78:79]
	;; [unrolled: 1-line block ×4, first 2 shown]
	v_add_f64_e32 v[40:41], v[44:45], v[40:41]
	v_mul_f64_e32 v[44:45], s[36:37], v[76:77]
	v_add_f64_e32 v[42:43], v[46:47], v[42:43]
	v_mul_f64_e32 v[46:47], s[20:21], v[177:178]
	v_mul_f64_e32 v[76:77], s[38:39], v[76:77]
	v_fma_f64 v[177:178], v[120:121], s[40:41], v[233:234]
	v_fma_f64 v[233:234], v[70:71], s[20:21], -v[235:236]
	v_add_f64_e32 v[241:242], v[26:27], v[241:242]
	v_add_f64_e32 v[243:244], v[24:25], v[243:244]
	;; [unrolled: 1-line block ×6, first 2 shown]
	v_fma_f64 v[48:49], v[64:65], s[16:17], v[94:95]
	v_fma_f64 v[94:95], v[64:65], s[36:37], v[94:95]
	s_wait_alu 0xfffe
	v_fma_f64 v[235:236], v[106:107], s[0:1], v[239:240]
	v_add_f64_e32 v[60:61], v[26:27], v[60:61]
	v_add_f64_e32 v[68:69], v[26:27], v[68:69]
	;; [unrolled: 1-line block ×4, first 2 shown]
	v_fma_f64 v[50:51], v[120:121], s[10:11], v[98:99]
	v_fma_f64 v[98:99], v[120:121], s[10:11], -v[98:99]
	v_add_f64_e32 v[58:59], v[92:93], v[58:59]
	v_add_f64_e32 v[56:57], v[88:89], v[56:57]
	;; [unrolled: 1-line block ×3, first 2 shown]
	v_fma_f64 v[92:93], v[78:79], s[18:19], v[205:206]
	v_add_f64_e64 v[54:55], v[54:55], -v[140:141]
	v_add_f64_e32 v[52:53], v[136:137], v[52:53]
	v_add_f64_e64 v[114:115], v[221:222], -v[146:147]
	v_fma_f64 v[90:91], v[72:73], s[36:37], v[152:153]
	v_add_f64_e32 v[82:83], v[167:168], v[82:83]
	v_add_f64_e32 v[36:37], v[40:41], v[36:37]
	v_fma_f64 v[40:41], v[70:71], s[18:19], v[44:45]
	v_add_f64_e32 v[38:39], v[42:43], v[38:39]
	v_fma_f64 v[42:43], v[106:107], s[14:15], v[239:240]
	v_fma_f64 v[239:240], v[106:107], s[6:7], v[46:47]
	;; [unrolled: 1-line block ×5, first 2 shown]
	v_fma_f64 v[44:45], v[70:71], s[18:19], -v[44:45]
	v_fma_f64 v[96:97], v[120:121], s[20:21], v[104:105]
	v_fma_f64 v[104:105], v[120:121], s[20:21], -v[104:105]
	v_fma_f64 v[120:121], v[70:71], s[40:41], v[76:77]
	v_fma_f64 v[70:71], v[70:71], s[40:41], -v[76:77]
	v_add_f64_e32 v[162:163], v[162:163], v[241:242]
	v_add_f64_e32 v[185:186], v[185:186], v[243:244]
	;; [unrolled: 1-line block ×3, first 2 shown]
	v_mul_f64_e32 v[233:234], s[0:1], v[108:109]
	v_mul_f64_e32 v[108:109], s[44:45], v[108:109]
	v_add_f64_e32 v[94:95], v[94:95], v[189:190]
	v_add_f64_e32 v[60:61], v[229:230], v[60:61]
	;; [unrolled: 1-line block ×5, first 2 shown]
	v_mul_f64_e32 v[243:244], s[22:23], v[175:176]
	v_mul_f64_e32 v[245:246], s[20:21], v[179:180]
	;; [unrolled: 1-line block ×3, first 2 shown]
	v_fma_f64 v[80:81], v[72:73], s[44:45], v[207:208]
	v_add_f64_e32 v[58:59], v[142:143], v[58:59]
	v_add_f64_e32 v[56:57], v[130:131], v[56:57]
	v_mul_f64_e32 v[76:77], s[10:11], v[110:111]
	v_mul_f64_e32 v[179:180], s[30:31], v[179:180]
	;; [unrolled: 1-line block ×3, first 2 shown]
	v_fma_f64 v[74:75], v[72:73], s[28:29], v[207:208]
	v_mul_f64_e32 v[241:242], s[36:37], v[181:182]
	v_mul_f64_e32 v[229:230], s[24:25], v[183:184]
	;; [unrolled: 1-line block ×3, first 2 shown]
	v_add_f64_e64 v[130:131], v[237:238], -v[165:166]
	v_add_f64_e32 v[142:143], v[158:159], v[227:228]
	v_add_f64_e32 v[32:33], v[36:37], v[32:33]
	;; [unrolled: 1-line block ×4, first 2 shown]
	v_fma_f64 v[36:37], v[72:73], s[14:15], v[193:194]
	v_fma_f64 v[38:39], v[72:73], s[0:1], v[193:194]
	;; [unrolled: 1-line block ×3, first 2 shown]
	v_mul_f64_e32 v[247:248], s[22:23], v[181:182]
	v_add_f64_e32 v[64:65], v[64:65], v[68:69]
	v_add_f64_e32 v[68:69], v[100:101], v[116:117]
	v_add_f64_e32 v[44:45], v[44:45], v[191:192]
	v_fma_f64 v[100:101], v[78:79], s[18:19], -v[205:206]
	v_add_f64_e32 v[86:87], v[120:121], v[86:87]
	v_add_f64_e32 v[66:67], v[70:71], v[66:67]
	;; [unrolled: 1-line block ×4, first 2 shown]
	v_add_f64_e64 v[120:121], v[217:218], -v[132:133]
	v_fma_f64 v[132:133], v[78:79], s[10:11], v[233:234]
	v_fma_f64 v[136:137], v[78:79], s[10:11], -v[233:234]
	v_fma_f64 v[140:141], v[78:79], s[30:31], v[108:109]
	v_fma_f64 v[78:79], v[78:79], s[30:31], -v[108:109]
	v_add_f64_e32 v[108:109], v[112:113], v[162:163]
	v_add_f64_e32 v[112:113], v[177:178], v[185:186]
	;; [unrolled: 1-line block ×11, first 2 shown]
	v_add_f64_e64 v[76:77], v[76:77], -v[171:172]
	v_mul_f64_e32 v[181:182], s[0:1], v[181:182]
	v_fma_f64 v[94:95], v[84:85], s[6:7], v[245:246]
	v_fma_f64 v[122:123], v[84:85], s[28:29], v[179:180]
	;; [unrolled: 1-line block ×3, first 2 shown]
	v_add_f64_e64 v[144:145], v[225:226], -v[154:155]
	v_add_f64_e32 v[28:29], v[32:33], v[28:29]
	v_add_f64_e32 v[40:41], v[50:51], v[40:41]
	;; [unrolled: 1-line block ×3, first 2 shown]
	v_fma_f64 v[34:35], v[110:111], s[24:25], v[243:244]
	v_fma_f64 v[32:33], v[84:85], s[26:27], v[209:210]
	v_add_f64_e32 v[46:47], v[46:47], v[64:65]
	v_add_f64_e32 v[50:51], v[169:170], v[68:69]
	v_add_f64_e32 v[64:65], v[160:161], v[88:89]
	v_add_f64_e32 v[44:45], v[98:99], v[44:45]
	v_fma_f64 v[98:99], v[84:85], s[34:35], v[245:246]
	v_add_f64_e32 v[66:67], v[104:105], v[66:67]
	v_add_f64_e32 v[68:69], v[239:240], v[70:71]
	;; [unrolled: 1-line block ×3, first 2 shown]
	v_fma_f64 v[96:97], v[110:111], s[20:21], v[189:190]
	v_add_f64_e32 v[58:59], v[116:117], v[58:59]
	v_fma_f64 v[86:87], v[84:85], s[22:23], v[209:210]
	v_fma_f64 v[88:89], v[110:111], s[24:25], -v[243:244]
	v_fma_f64 v[104:105], v[110:111], s[20:21], -v[189:190]
	v_add_f64_e32 v[36:37], v[36:37], v[108:109]
	v_add_f64_e32 v[108:109], v[132:133], v[112:113]
	;; [unrolled: 1-line block ×3, first 2 shown]
	v_fma_f64 v[84:85], v[84:85], s[44:45], v[179:180]
	v_add_f64_e32 v[38:39], v[38:39], v[60:61]
	v_add_f64_e32 v[60:61], v[136:137], v[62:63]
	v_fma_f64 v[110:111], v[110:111], s[30:31], -v[175:176]
	v_add_f64_e32 v[48:49], v[74:75], v[48:49]
	v_add_f64_e32 v[26:27], v[52:53], v[26:27]
	v_add_f64_e32 v[24:25], v[120:121], v[24:25]
	v_fma_f64 v[52:53], v[102:103], s[36:37], v[195:196]
	v_fma_f64 v[74:75], v[102:103], s[22:23], v[229:230]
	v_fma_f64 v[80:81], v[102:103], s[14:15], v[183:184]
	v_add_f64_e32 v[54:55], v[130:131], v[54:55]
	v_fma_f64 v[116:117], v[118:119], s[10:11], v[181:182]
	v_add_f64_e32 v[112:113], v[128:129], v[213:214]
	s_wait_loadcnt 0x0
	v_and_b32_e32 v0, 0xffff, v0
	v_add_f64_e32 v[20:21], v[28:29], v[20:21]
	v_add_f64_e32 v[40:41], v[140:141], v[40:41]
	;; [unrolled: 1-line block ×3, first 2 shown]
	v_fma_f64 v[28:29], v[102:103], s[16:17], v[195:196]
	v_fma_f64 v[30:31], v[118:119], s[18:19], v[241:242]
	v_lshlrev_b32_e32 v0, 4, v0
	v_add_f64_e32 v[46:47], v[72:73], v[46:47]
	v_add_f64_e32 v[50:51], v[106:107], v[50:51]
	;; [unrolled: 1-line block ×4, first 2 shown]
	v_fma_f64 v[72:73], v[118:119], s[24:25], v[247:248]
	v_add_f64_e32 v[62:63], v[100:101], v[66:67]
	v_add_f64_e32 v[64:65], v[90:91], v[68:69]
	;; [unrolled: 1-line block ×3, first 2 shown]
	v_fma_f64 v[70:71], v[102:103], s[26:27], v[229:230]
	v_fma_f64 v[90:91], v[102:103], s[0:1], v[183:184]
	v_add_f64_e32 v[102:103], v[138:139], v[197:198]
	v_add_f64_e64 v[106:107], v[199:200], -v[134:135]
	v_add_f64_e32 v[58:59], v[82:83], v[58:59]
	v_fma_f64 v[68:69], v[118:119], s[18:19], -v[241:242]
	v_add_f64_e32 v[34:35], v[34:35], v[108:109]
	v_add_f64_e32 v[42:43], v[98:99], v[42:43]
	;; [unrolled: 1-line block ×3, first 2 shown]
	v_add_f64_e64 v[100:101], v[201:202], -v[148:149]
	v_add_f64_e32 v[32:33], v[32:33], v[36:37]
	v_add_f64_e32 v[36:37], v[86:87], v[38:39]
	v_add_f64_e32 v[38:39], v[88:89], v[60:61]
	v_fma_f64 v[78:79], v[118:119], s[24:25], -v[247:248]
	v_fma_f64 v[118:119], v[118:119], s[10:11], -v[181:182]
	v_add_f64_e32 v[48:49], v[94:95], v[48:49]
	v_add_f64_e64 v[114:115], v[203:204], -v[124:125]
	v_add_f64_e32 v[82:83], v[20:21], v[16:17]
	v_add_f64_e32 v[40:41], v[96:97], v[40:41]
	;; [unrolled: 1-line block ×32, first 2 shown]
	ds_store_b128 v0, v[4:7] offset:160
	ds_store_b128 v0, v[8:11] offset:176
	;; [unrolled: 1-line block ×10, first 2 shown]
	ds_store_b128 v0, v[12:15]
	ds_store_b128 v0, v[48:51] offset:16
	scratch_load_b128 v[12:15], off, off offset:12 ; 16-byte Folded Reload
	s_wait_loadcnt 0x0
	ds_store_b128 v0, v[12:15] offset:192
.LBB0_7:
	s_or_b32 exec_lo, exec_lo, s33
	global_wb scope:SCOPE_SE
	s_wait_dscnt 0x0
	s_barrier_signal -1
	s_barrier_wait -1
	global_inv scope:SCOPE_SE
	ds_load_b128 v[12:15], v255
	ds_load_b128 v[16:19], v255 offset:2496
	ds_load_b128 v[56:59], v255 offset:16224
	;; [unrolled: 1-line block ×9, first 2 shown]
	scratch_load_b32 v0, off, off           ; 4-byte Folded Reload
	s_wait_loadcnt 0x0
	v_cmp_gt_u16_e64 s0, 0x4e, v0
	s_delay_alu instid0(VALU_DEP_1)
	s_and_saveexec_b32 s1, s0
	s_cbranch_execz .LBB0_9
; %bb.8:
	ds_load_b128 v[4:7], v255 offset:12480
	ds_load_b128 v[8:11], v255 offset:26208
.LBB0_9:
	s_wait_alu 0xfffe
	s_or_b32 exec_lo, exec_lo, s1
	scratch_load_b32 v31, off, off          ; 4-byte Folded Reload
	s_wait_loadcnt 0x0
	v_and_b32_e32 v0, 0xff, v31
	v_add_nc_u16 v116, v31, 0x9c
	v_add_co_u32 v1, null, 0x138, v31
	v_add_co_u32 v2, null, 0x1d4, v31
	s_delay_alu instid0(VALU_DEP_4) | instskip(NEXT) | instid1(VALU_DEP_4)
	v_mul_lo_u16 v0, 0x4f, v0
	v_and_b32_e32 v25, 0xffff, v116
	v_add_co_u32 v3, null, 0x270, v31
	v_and_b32_e32 v26, 0xffff, v1
	s_delay_alu instid0(VALU_DEP_4)
	v_lshrrev_b16 v0, 10, v0
	v_add_nc_u16 v24, v31, 0x30c
	v_and_b32_e32 v27, 0xffff, v2
	v_mul_u32_u24_e32 v117, 0x4ec5, v25
	v_and_b32_e32 v28, 0xffff, v3
	v_mul_lo_u16 v29, v0, 13
	v_mul_u32_u24_e32 v25, 0x4ec5, v26
	v_and_b32_e32 v30, 0xffff, v24
	v_mul_u32_u24_e32 v26, 0x4ec5, v27
	v_mul_u32_u24_e32 v28, 0x4ec5, v28
	v_sub_nc_u16 v27, v31, v29
	v_lshrrev_b32_e32 v29, 18, v117
	v_lshrrev_b32_e32 v25, 18, v25
	v_mul_u32_u24_e32 v30, 0x4ec5, v30
	v_lshrrev_b32_e32 v26, 18, v26
	v_lshrrev_b32_e32 v28, 18, v28
	v_mul_lo_u16 v31, v29, 13
	v_mul_lo_u16 v32, v25, 13
	v_lshrrev_b32_e32 v30, 18, v30
	v_mul_lo_u16 v34, v26, 13
	v_and_b32_e32 v27, 0xff, v27
	v_sub_nc_u16 v31, v116, v31
	v_sub_nc_u16 v1, v1, v32
	v_mul_lo_u16 v32, v28, 13
	v_mul_lo_u16 v35, v30, 13
	v_sub_nc_u16 v2, v2, v34
	v_and_b32_e32 v36, 0xffff, v31
	v_and_b32_e32 v34, 0xffff, v1
	v_sub_nc_u16 v3, v3, v32
	v_sub_nc_u16 v24, v24, v35
	v_lshlrev_b32_e32 v33, 4, v27
	v_lshlrev_b32_e32 v32, 4, v36
	v_and_b32_e32 v35, 0xffff, v2
	v_and_b32_e32 v40, 0xffff, v3
	v_lshlrev_b32_e32 v34, 4, v34
	v_and_b32_e32 v44, 0xffff, v24
	s_clause 0x1
	global_load_b128 v[104:107], v33, s[2:3]
	global_load_b128 v[36:39], v32, s[2:3]
	v_lshlrev_b32_e32 v33, 4, v35
	v_lshlrev_b32_e32 v32, 4, v40
	global_load_b128 v[40:43], v34, s[2:3]
	v_lshlrev_b32_e32 v34, 4, v44
	s_clause 0x2
	global_load_b128 v[44:47], v33, s[2:3]
	global_load_b128 v[100:103], v32, s[2:3]
	global_load_b128 v[32:35], v34, s[2:3]
	v_and_b32_e32 v0, 0xffff, v0
	s_load_b128 s[4:7], s[4:5], 0x0
	v_mad_u16 v1, v25, 26, v1
	v_mad_u16 v2, v26, 26, v2
	;; [unrolled: 1-line block ×3, first 2 shown]
	v_mul_u32_u24_e32 v0, 26, v0
	s_delay_alu instid0(VALU_DEP_4) | instskip(NEXT) | instid1(VALU_DEP_4)
	v_and_b32_e32 v1, 0xffff, v1
	v_and_b32_e32 v2, 0xffff, v2
	s_delay_alu instid0(VALU_DEP_4)
	v_and_b32_e32 v3, 0xffff, v3
	s_wait_loadcnt_dscnt 0x503
	v_mul_f64_e32 v[76:77], v[74:75], v[106:107]
	v_mul_f64_e32 v[78:79], v[72:73], v[106:107]
	s_wait_loadcnt 0x4
	v_mul_f64_e32 v[80:81], v[58:59], v[38:39]
	v_mul_f64_e32 v[82:83], v[56:57], v[38:39]
	s_wait_loadcnt 0x3
	v_mul_f64_e32 v[84:85], v[62:63], v[42:43]
	v_mul_f64_e32 v[86:87], v[60:61], v[42:43]
	s_wait_loadcnt_dscnt 0x201
	v_mul_f64_e32 v[88:89], v[70:71], v[46:47]
	v_mul_f64_e32 v[90:91], v[68:69], v[46:47]
	s_wait_loadcnt_dscnt 0x100
	v_mul_f64_e32 v[92:93], v[66:67], v[102:103]
	v_mul_f64_e32 v[94:95], v[64:65], v[102:103]
	s_wait_loadcnt 0x0
	v_mul_f64_e32 v[96:97], v[10:11], v[34:35]
	v_mul_f64_e32 v[98:99], v[8:9], v[34:35]
	s_clause 0x1
	scratch_store_b128 off, v[100:103], off offset:48
	scratch_store_b128 off, v[32:35], off offset:32
	v_fma_f64 v[72:73], v[72:73], v[104:105], -v[76:77]
	v_fma_f64 v[74:75], v[74:75], v[104:105], v[78:79]
	v_fma_f64 v[56:57], v[56:57], v[36:37], -v[80:81]
	v_fma_f64 v[58:59], v[58:59], v[36:37], v[82:83]
	;; [unrolled: 2-line block ×6, first 2 shown]
	v_add_f64_e64 v[8:9], v[12:13], -v[72:73]
	v_add_f64_e64 v[10:11], v[14:15], -v[74:75]
	;; [unrolled: 1-line block ×12, first 2 shown]
	v_fma_f64 v[12:13], v[12:13], 2.0, -v[8:9]
	v_fma_f64 v[14:15], v[14:15], 2.0, -v[10:11]
	v_fma_f64 v[16:17], v[16:17], 2.0, -v[56:57]
	v_fma_f64 v[18:19], v[18:19], 2.0, -v[58:59]
	v_fma_f64 v[48:49], v[48:49], 2.0, -v[64:65]
	v_fma_f64 v[50:51], v[50:51], 2.0, -v[66:67]
	v_fma_f64 v[60:61], v[20:21], 2.0, -v[72:73]
	v_fma_f64 v[62:63], v[22:23], 2.0, -v[74:75]
	v_fma_f64 v[76:77], v[52:53], 2.0, -v[88:89]
	v_fma_f64 v[78:79], v[54:55], 2.0, -v[90:91]
	v_fma_f64 v[80:81], v[4:5], 2.0, -v[100:101]
	v_fma_f64 v[82:83], v[6:7], 2.0, -v[102:103]
	v_add_lshl_u32 v4, v0, v27, 4
	v_mad_u16 v0, v29, 26, v31
	v_mad_u16 v5, v30, 26, v24
	scratch_store_b128 off, v[104:107], off offset:64 ; 16-byte Folded Spill
	v_and_b32_e32 v0, 0xffff, v0
	scratch_store_b32 off, v5, off offset:84 ; 4-byte Folded Spill
	v_lshlrev_b32_e32 v5, 4, v1
	v_lshlrev_b32_e32 v1, 4, v2
	global_wb scope:SCOPE_SE
	s_wait_storecnt 0x0
	v_lshlrev_b32_e32 v6, 4, v0
	v_lshlrev_b32_e32 v0, 4, v3
	s_wait_kmcnt 0x0
	s_barrier_signal -1
	s_barrier_wait -1
	global_inv scope:SCOPE_SE
	scratch_store_b32 off, v4, off offset:80 ; 4-byte Folded Spill
	ds_store_b128 v4, v[12:15]
	ds_store_b128 v4, v[8:11] offset:208
	ds_store_b128 v6, v[16:19]
	scratch_store_b32 off, v6, off offset:100 ; 4-byte Folded Spill
	ds_store_b128 v6, v[56:59] offset:208
	ds_store_b128 v5, v[48:51]
	scratch_store_b32 off, v5, off offset:96 ; 4-byte Folded Spill
	;; [unrolled: 3-line block ×4, first 2 shown]
	ds_store_b128 v0, v[88:91] offset:208
	s_and_saveexec_b32 s1, s0
	s_cbranch_execz .LBB0_11
; %bb.10:
	scratch_load_b32 v0, off, off offset:84 ; 4-byte Folded Reload
	s_wait_loadcnt 0x0
	v_and_b32_e32 v0, 0xffff, v0
	s_delay_alu instid0(VALU_DEP_1)
	v_lshlrev_b32_e32 v0, 4, v0
	ds_store_b128 v0, v[80:83]
	ds_store_b128 v0, v[100:103] offset:208
.LBB0_11:
	s_wait_alu 0xfffe
	s_or_b32 exec_lo, exec_lo, s1
	global_wb scope:SCOPE_SE
	s_wait_storecnt_dscnt 0x0
	s_barrier_signal -1
	s_barrier_wait -1
	global_inv scope:SCOPE_SE
	ds_load_b128 v[84:87], v255
	ds_load_b128 v[104:107], v255 offset:4576
	ds_load_b128 v[92:95], v255 offset:9152
	;; [unrolled: 1-line block ×5, first 2 shown]
	scratch_load_b32 v0, off, off           ; 4-byte Folded Reload
	s_wait_loadcnt 0x0
	v_cmp_gt_u16_e64 s1, 0x82, v0
	s_delay_alu instid0(VALU_DEP_1)
	s_and_saveexec_b32 s10, s1
	s_cbranch_execz .LBB0_13
; %bb.12:
	ds_load_b128 v[60:63], v255 offset:2496
	ds_load_b128 v[72:75], v255 offset:7072
	;; [unrolled: 1-line block ×6, first 2 shown]
.LBB0_13:
	s_wait_alu 0xfffe
	s_or_b32 exec_lo, exec_lo, s10
	scratch_load_b32 v4, off, off           ; 4-byte Folded Reload
	v_lshrrev_b32_e32 v1, 19, v117
	s_mov_b32 s15, 0xbfebb67a
	s_delay_alu instid0(VALU_DEP_1) | instskip(NEXT) | instid1(VALU_DEP_1)
	v_mul_lo_u16 v2, v1, 26
	v_sub_nc_u16 v2, v116, v2
	s_delay_alu instid0(VALU_DEP_1) | instskip(SKIP_2) | instid1(VALU_DEP_1)
	v_mad_u16 v1, 0x9c, v1, v2
	s_wait_loadcnt 0x0
	v_and_b32_e32 v0, 0xff, v4
	v_mul_lo_u16 v0, 0x4f, v0
	s_delay_alu instid0(VALU_DEP_1) | instskip(NEXT) | instid1(VALU_DEP_1)
	v_lshrrev_b16 v0, 11, v0
	v_mul_lo_u16 v3, v0, 26
	v_and_b32_e32 v0, 0xffff, v0
	s_delay_alu instid0(VALU_DEP_2) | instskip(SKIP_1) | instid1(VALU_DEP_3)
	v_sub_nc_u16 v3, v4, v3
	v_mul_lo_u16 v4, 0x50, v2
	v_mul_u32_u24_e32 v0, 0x9c, v0
	s_delay_alu instid0(VALU_DEP_3) | instskip(NEXT) | instid1(VALU_DEP_3)
	v_and_b32_e32 v3, 0xff, v3
	v_and_b32_e32 v4, 0xffff, v4
	s_delay_alu instid0(VALU_DEP_2) | instskip(NEXT) | instid1(VALU_DEP_2)
	v_mad_co_u64_u32 v[52:53], null, 0x50, v3, s[2:3]
	v_add_co_u32 v12, s10, s2, v4
	s_wait_alu 0xf1ff
	v_add_co_ci_u32_e64 v13, null, s3, 0, s10
	s_mov_b32 s10, 0xe8584caa
	s_clause 0x9
	global_load_b128 v[4:7], v[12:13], off offset:240
	global_load_b128 v[20:23], v[12:13], off offset:272
	;; [unrolled: 1-line block ×10, first 2 shown]
	s_mov_b32 s11, 0x3febb67a
	s_wait_alu 0xfffe
	s_mov_b32 s14, s10
	v_add_lshl_u32 v164, v0, v3, 4
	scratch_store_b32 off, v1, off offset:104 ; 4-byte Folded Spill
	s_wait_loadcnt_dscnt 0x902
	v_mul_f64_e32 v[116:117], v[90:91], v[6:7]
	s_wait_loadcnt_dscnt 0x800
	v_mul_f64_e32 v[118:119], v[102:103], v[22:23]
	s_wait_loadcnt 0x7
	v_mul_f64_e32 v[120:121], v[110:111], v[66:67]
	v_mul_f64_e32 v[122:123], v[108:109], v[66:67]
	s_wait_loadcnt 0x6
	v_mul_f64_e32 v[124:125], v[112:113], v[70:71]
	v_mul_f64_e32 v[126:127], v[114:115], v[70:71]
	;; [unrolled: 1-line block ×4, first 2 shown]
	s_wait_loadcnt 0x5
	v_mul_f64_e32 v[132:133], v[106:107], v[50:51]
	v_mul_f64_e32 v[134:135], v[104:105], v[50:51]
	s_wait_loadcnt 0x4
	v_mul_f64_e32 v[136:137], v[74:75], v[10:11]
	s_wait_loadcnt 0x3
	;; [unrolled: 2-line block ×3, first 2 shown]
	v_mul_f64_e32 v[140:141], v[80:81], v[14:15]
	s_clause 0x4
	scratch_store_b128 off, v[4:7], off offset:108
	scratch_store_b128 off, v[20:23], off offset:172
	scratch_store_b128 off, v[16:19], off offset:156
	scratch_store_b128 off, v[8:11], off offset:124
	scratch_store_b128 off, v[12:15], off offset:140
	global_wb scope:SCOPE_SE
	s_wait_loadcnt 0x0
	s_wait_storecnt 0x0
	s_barrier_signal -1
	s_barrier_wait -1
	global_inv scope:SCOPE_SE
	v_fma_f64 v[116:117], v[88:89], v[4:5], -v[116:117]
	v_fma_f64 v[88:89], v[100:101], v[20:21], -v[118:119]
	;; [unrolled: 1-line block ×3, first 2 shown]
	v_fma_f64 v[110:111], v[110:111], v[64:65], v[122:123]
	v_fma_f64 v[114:115], v[114:115], v[68:69], v[124:125]
	v_fma_f64 v[118:119], v[112:113], v[68:69], -v[126:127]
	v_mul_f64_e32 v[112:113], v[72:73], v[10:11]
	v_fma_f64 v[100:101], v[90:91], v[4:5], v[128:129]
	v_fma_f64 v[90:91], v[102:103], v[20:21], v[130:131]
	v_mul_f64_e32 v[120:121], v[78:79], v[18:19]
	v_mul_f64_e32 v[122:123], v[82:83], v[14:15]
	;; [unrolled: 1-line block ×6, first 2 shown]
	v_fma_f64 v[132:133], v[104:105], v[48:49], -v[132:133]
	v_fma_f64 v[134:135], v[106:107], v[48:49], v[134:135]
	v_fma_f64 v[72:73], v[72:73], v[8:9], -v[136:137]
	v_add_f64_e32 v[104:105], v[116:117], v[88:89]
	v_add_f64_e32 v[106:107], v[110:111], v[114:115]
	;; [unrolled: 1-line block ×3, first 2 shown]
	v_fma_f64 v[102:103], v[74:75], v[8:9], v[112:113]
	v_add_f64_e32 v[112:113], v[100:101], v[90:91]
	v_fma_f64 v[76:77], v[76:77], v[16:17], -v[120:121]
	v_fma_f64 v[74:75], v[80:81], v[12:13], -v[122:123]
	;; [unrolled: 1-line block ×3, first 2 shown]
	v_fma_f64 v[80:81], v[94:95], v[56:57], v[126:127]
	v_fma_f64 v[122:123], v[96:97], v[52:53], -v[128:129]
	v_fma_f64 v[124:125], v[98:99], v[52:53], v[130:131]
	v_add_f64_e64 v[96:97], v[100:101], -v[90:91]
	v_add_f64_e64 v[98:99], v[110:111], -v[114:115]
	v_add_f64_e64 v[126:127], v[108:109], -v[118:119]
	v_fma_f64 v[92:93], v[78:79], v[16:17], v[138:139]
	v_fma_f64 v[78:79], v[82:83], v[12:13], v[140:141]
	v_add_f64_e32 v[108:109], v[132:133], v[108:109]
	v_add_f64_e32 v[110:111], v[134:135], v[110:111]
	v_fma_f64 v[94:95], v[104:105], -0.5, v[72:73]
	v_fma_f64 v[128:129], v[106:107], -0.5, v[134:135]
	;; [unrolled: 1-line block ×3, first 2 shown]
	v_add_f64_e64 v[106:107], v[116:117], -v[88:89]
	v_fma_f64 v[104:105], v[112:113], -0.5, v[102:103]
	v_add_f64_e32 v[112:113], v[76:77], v[74:75]
	v_add_f64_e32 v[146:147], v[84:85], v[120:121]
	;; [unrolled: 1-line block ×5, first 2 shown]
	v_add_f64_e64 v[148:149], v[80:81], -v[124:125]
	v_add_f64_e64 v[120:121], v[120:121], -v[122:123]
	;; [unrolled: 1-line block ×3, first 2 shown]
	v_add_f64_e32 v[108:109], v[108:109], v[118:119]
	v_add_f64_e32 v[110:111], v[110:111], v[114:115]
	s_wait_alu 0xfffe
	v_fma_f64 v[140:141], v[96:97], s[14:15], v[94:95]
	v_fma_f64 v[142:143], v[126:127], s[14:15], v[128:129]
	v_fma_f64 v[144:145], v[98:99], s[14:15], v[130:131]
	v_fma_f64 v[130:131], v[98:99], s[10:11], v[130:131]
	v_fma_f64 v[126:127], v[126:127], s[10:11], v[128:129]
	v_add_f64_e32 v[98:99], v[92:93], v[78:79]
	v_fma_f64 v[128:129], v[106:107], s[10:11], v[104:105]
	v_fma_f64 v[80:81], v[112:113], -0.5, v[60:61]
	v_add_f64_e64 v[112:113], v[76:77], -v[74:75]
	v_add_f64_e32 v[146:147], v[146:147], v[122:123]
	v_fma_f64 v[132:133], v[136:137], -0.5, v[84:85]
	v_fma_f64 v[86:87], v[138:139], -0.5, v[86:87]
	v_add_f64_e32 v[150:151], v[150:151], v[124:125]
	v_mul_f64_e32 v[134:135], -0.5, v[140:141]
	v_mul_f64_e32 v[136:137], s[10:11], v[142:143]
	v_mul_f64_e32 v[138:139], -0.5, v[144:145]
	v_mul_f64_e32 v[152:153], s[14:15], v[130:131]
	v_mul_f64_e32 v[154:155], -0.5, v[126:127]
	v_fma_f64 v[98:99], v[98:99], -0.5, v[62:63]
	v_mul_f64_e32 v[156:157], -0.5, v[128:129]
	v_fma_f64 v[84:85], v[82:83], s[14:15], v[80:81]
	v_add_f64_e64 v[124:125], v[146:147], -v[108:109]
	v_fma_f64 v[158:159], v[148:149], s[10:11], v[132:133]
	v_fma_f64 v[160:161], v[120:121], s[14:15], v[86:87]
	;; [unrolled: 1-line block ×4, first 2 shown]
	v_add_f64_e32 v[120:121], v[146:147], v[108:109]
	v_add_f64_e32 v[122:123], v[150:151], v[110:111]
	v_fma_f64 v[86:87], v[128:129], s[10:11], v[134:135]
	v_fma_f64 v[136:137], v[130:131], 0.5, v[136:137]
	v_fma_f64 v[138:139], v[126:127], s[10:11], v[138:139]
	v_fma_f64 v[142:143], v[142:143], 0.5, v[152:153]
	v_fma_f64 v[144:145], v[144:145], s[14:15], v[154:155]
	v_fma_f64 v[114:115], v[112:113], s[10:11], v[98:99]
	;; [unrolled: 1-line block ×3, first 2 shown]
	v_add_f64_e64 v[126:127], v[150:151], -v[110:111]
	v_add_f64_e64 v[108:109], v[84:85], -v[86:87]
	v_add_f64_e32 v[128:129], v[158:159], v[136:137]
	v_add_f64_e32 v[132:133], v[148:149], v[138:139]
	;; [unrolled: 1-line block ×4, first 2 shown]
	v_add_f64_e64 v[136:137], v[158:159], -v[136:137]
	v_add_f64_e64 v[110:111], v[114:115], -v[118:119]
	v_add_f64_e64 v[140:141], v[148:149], -v[138:139]
	v_add_f64_e64 v[138:139], v[160:161], -v[142:143]
	v_add_f64_e64 v[142:143], v[162:163], -v[144:145]
	ds_store_b128 v164, v[120:123]
	ds_store_b128 v164, v[128:131] offset:416
	ds_store_b128 v164, v[132:135] offset:832
	;; [unrolled: 1-line block ×5, first 2 shown]
	s_and_saveexec_b32 s14, s1
	s_cbranch_execz .LBB0_15
; %bb.14:
	scratch_load_b32 v0, off, off offset:104 ; 4-byte Folded Reload
	v_mul_f64_e32 v[96:97], s[10:11], v[96:97]
	v_mul_f64_e32 v[106:107], s[10:11], v[106:107]
	v_add_f64_e32 v[62:63], v[62:63], v[92:93]
	v_add_f64_e32 v[92:93], v[102:103], v[100:101]
	;; [unrolled: 1-line block ×4, first 2 shown]
	v_mul_f64_e32 v[76:77], s[10:11], v[112:113]
	v_mul_f64_e32 v[82:83], s[10:11], v[82:83]
	v_add_f64_e32 v[94:95], v[96:97], v[94:95]
	v_add_f64_e64 v[96:97], v[104:105], -v[106:107]
	v_add_f64_e32 v[78:79], v[62:63], v[78:79]
	v_add_f64_e32 v[90:91], v[92:93], v[90:91]
	;; [unrolled: 1-line block ×4, first 2 shown]
	v_add_f64_e64 v[98:99], v[98:99], -v[76:77]
	v_add_f64_e32 v[80:81], v[82:83], v[80:81]
	v_add_f64_e32 v[62:63], v[114:115], v[118:119]
	;; [unrolled: 1-line block ×3, first 2 shown]
	v_mul_f64_e32 v[100:101], s[10:11], v[94:95]
	v_mul_f64_e32 v[102:103], s[10:11], v[96:97]
	v_add_f64_e64 v[74:75], v[78:79], -v[90:91]
	v_add_f64_e32 v[78:79], v[78:79], v[90:91]
	v_add_f64_e64 v[72:73], v[92:93], -v[88:89]
	v_add_f64_e32 v[76:77], v[92:93], v[88:89]
	v_fma_f64 v[96:97], v[96:97], 0.5, -v[100:101]
	v_fma_f64 v[94:95], v[94:95], 0.5, v[102:103]
	s_delay_alu instid0(VALU_DEP_2) | instskip(NEXT) | instid1(VALU_DEP_2)
	v_add_f64_e32 v[86:87], v[98:99], v[96:97]
	v_add_f64_e32 v[84:85], v[80:81], v[94:95]
	v_add_f64_e64 v[82:83], v[98:99], -v[96:97]
	v_add_f64_e64 v[80:81], v[80:81], -v[94:95]
	s_wait_loadcnt 0x0
	v_and_b32_e32 v0, 0xffff, v0
	s_delay_alu instid0(VALU_DEP_1)
	v_lshlrev_b32_e32 v0, 4, v0
	ds_store_b128 v0, v[60:63] offset:832
	ds_store_b128 v0, v[72:75] offset:1248
	ds_store_b128 v0, v[76:79]
	ds_store_b128 v0, v[84:87] offset:416
	ds_store_b128 v0, v[80:83] offset:1664
	;; [unrolled: 1-line block ×3, first 2 shown]
.LBB0_15:
	s_wait_alu 0xfffe
	s_or_b32 exec_lo, exec_lo, s14
	scratch_load_b32 v0, off, off           ; 4-byte Folded Reload
	global_wb scope:SCOPE_SE
	s_wait_loadcnt_dscnt 0x0
	s_barrier_signal -1
	s_barrier_wait -1
	global_inv scope:SCOPE_SE
	s_mov_b32 s26, 0xf8bb580b
	s_mov_b32 s20, 0x43842ef
	;; [unrolled: 1-line block ×19, first 2 shown]
	s_wait_alu 0xfffe
	s_mov_b32 s30, s28
	s_mov_b32 s35, 0x3fefac9e
	;; [unrolled: 1-line block ×5, first 2 shown]
	v_mad_co_u64_u32 v[100:101], null, 0xa0, v0, s[2:3]
	s_mov_b32 s2, 0x9bcd5057
	s_mov_b32 s3, 0xbfeeb42a
	s_clause 0x3
	global_load_b128 v[76:79], v[100:101], off offset:2288
	global_load_b128 v[60:63], v[100:101], off offset:2432
	;; [unrolled: 1-line block ×4, first 2 shown]
	ds_load_b128 v[84:87], v255 offset:2496
	ds_load_b128 v[88:91], v255 offset:24960
	ds_load_b128 v[112:115], v255
	ds_load_b128 v[92:95], v255 offset:4992
	s_wait_loadcnt_dscnt 0x303
	v_mul_f64_e32 v[96:97], v[86:87], v[78:79]
	v_mul_f64_e32 v[98:99], v[84:85], v[78:79]
	s_wait_loadcnt_dscnt 0x202
	v_mul_f64_e32 v[102:103], v[88:89], v[62:63]
	v_mul_f64_e32 v[104:105], v[90:91], v[62:63]
	s_delay_alu instid0(VALU_DEP_4) | instskip(NEXT) | instid1(VALU_DEP_4)
	v_fma_f64 v[124:125], v[84:85], v[76:77], -v[96:97]
	v_fma_f64 v[126:127], v[86:87], v[76:77], v[98:99]
	ds_load_b128 v[96:99], v255 offset:7488
	s_wait_loadcnt_dscnt 0x101
	v_mul_f64_e32 v[84:85], v[94:95], v[82:83]
	v_mul_f64_e32 v[86:87], v[92:93], v[82:83]
	v_fma_f64 v[156:157], v[90:91], v[60:61], v[102:103]
	v_fma_f64 v[158:159], v[88:89], v[60:61], -v[104:105]
	v_add_f64_e32 v[199:200], v[112:113], v[124:125]
	v_add_f64_e32 v[201:202], v[114:115], v[126:127]
	v_fma_f64 v[160:161], v[92:93], v[80:81], -v[84:85]
	v_fma_f64 v[162:163], v[94:95], v[80:81], v[86:87]
	ds_load_b128 v[84:87], v255 offset:22464
	ds_load_b128 v[102:105], v255 offset:19968
	v_add_f64_e32 v[130:131], v[124:125], v[158:159]
	v_add_f64_e32 v[150:151], v[126:127], v[156:157]
	s_wait_loadcnt_dscnt 0x1
	v_mul_f64_e32 v[88:89], v[84:85], v[74:75]
	s_delay_alu instid0(VALU_DEP_1) | instskip(SKIP_1) | instid1(VALU_DEP_2)
	v_fma_f64 v[165:166], v[86:87], v[72:73], v[88:89]
	v_mul_f64_e32 v[86:87], v[86:87], v[74:75]
	v_add_f64_e32 v[211:212], v[162:163], v[165:166]
	s_delay_alu instid0(VALU_DEP_2)
	v_fma_f64 v[167:168], v[84:85], v[72:73], -v[86:87]
	s_clause 0x1
	global_load_b128 v[88:91], v[100:101], off offset:2320
	global_load_b128 v[84:87], v[100:101], off offset:2336
	v_add_f64_e32 v[207:208], v[160:161], v[167:168]
	s_wait_loadcnt 0x1
	v_mul_f64_e32 v[92:93], v[98:99], v[90:91]
	s_delay_alu instid0(VALU_DEP_1) | instskip(SKIP_1) | instid1(VALU_DEP_1)
	v_fma_f64 v[169:170], v[96:97], v[88:89], -v[92:93]
	v_mul_f64_e32 v[92:93], v[96:97], v[90:91]
	v_fma_f64 v[171:172], v[98:99], v[88:89], v[92:93]
	s_clause 0x1
	global_load_b128 v[96:99], v[100:101], off offset:2400
	global_load_b128 v[92:95], v[100:101], off offset:2384
	s_wait_loadcnt_dscnt 0x100
	v_mul_f64_e32 v[106:107], v[102:103], v[98:99]
	s_delay_alu instid0(VALU_DEP_1) | instskip(SKIP_1) | instid1(VALU_DEP_2)
	v_fma_f64 v[173:174], v[104:105], v[96:97], v[106:107]
	v_mul_f64_e32 v[104:105], v[104:105], v[98:99]
	v_add_f64_e32 v[219:220], v[171:172], v[173:174]
	s_delay_alu instid0(VALU_DEP_2)
	v_fma_f64 v[175:176], v[102:103], v[96:97], -v[104:105]
	ds_load_b128 v[102:105], v255 offset:9984
	ds_load_b128 v[116:119], v255 offset:12480
	s_wait_dscnt 0x1
	v_mul_f64_e32 v[106:107], v[104:105], v[86:87]
	v_add_f64_e32 v[215:216], v[169:170], v[175:176]
	s_delay_alu instid0(VALU_DEP_2) | instskip(SKIP_1) | instid1(VALU_DEP_1)
	v_fma_f64 v[177:178], v[102:103], v[84:85], -v[106:107]
	v_mul_f64_e32 v[102:103], v[102:103], v[86:87]
	v_fma_f64 v[179:180], v[104:105], v[84:85], v[102:103]
	ds_load_b128 v[102:105], v255 offset:17472
	ds_load_b128 v[120:123], v255 offset:14976
	s_wait_loadcnt_dscnt 0x1
	v_mul_f64_e32 v[106:107], v[104:105], v[94:95]
	s_delay_alu instid0(VALU_DEP_1) | instskip(SKIP_1) | instid1(VALU_DEP_2)
	v_fma_f64 v[181:182], v[102:103], v[92:93], -v[106:107]
	v_mul_f64_e32 v[102:103], v[102:103], v[94:95]
	v_add_f64_e32 v[225:226], v[177:178], v[181:182]
	s_delay_alu instid0(VALU_DEP_2)
	v_fma_f64 v[183:184], v[104:105], v[92:93], v[102:103]
	s_clause 0x1
	global_load_b128 v[104:107], v[100:101], off offset:2352
	global_load_b128 v[100:103], v[100:101], off offset:2368
	v_add_f64_e64 v[229:230], v[177:178], -v[181:182]
	v_add_f64_e64 v[223:224], v[179:180], -v[183:184]
	v_add_f64_e32 v[231:232], v[179:180], v[183:184]
	s_delay_alu instid0(VALU_DEP_3) | instskip(SKIP_2) | instid1(VALU_DEP_4)
	v_mul_f64_e32 v[233:234], s[24:25], v[229:230]
	s_wait_alu 0xfffe
	v_mul_f64_e32 v[8:9], s[34:35], v[229:230]
	v_mul_f64_e32 v[227:228], s[24:25], v[223:224]
	;; [unrolled: 1-line block ×4, first 2 shown]
	s_delay_alu instid0(VALU_DEP_4) | instskip(SKIP_1) | instid1(VALU_DEP_4)
	v_fma_f64 v[10:11], v[231:232], s[16:17], v[8:9]
	v_mul_f64_e32 v[28:29], s[28:29], v[223:224]
	v_fma_f64 v[6:7], v[225:226], s[16:17], -v[4:5]
	s_delay_alu instid0(VALU_DEP_4) | instskip(SKIP_1) | instid1(VALU_DEP_4)
	v_fma_f64 v[22:23], v[225:226], s[18:19], -v[20:21]
	v_fma_f64 v[4:5], v[225:226], s[16:17], v[4:5]
	v_fma_f64 v[30:31], v[225:226], s[2:3], -v[28:29]
	v_fma_f64 v[28:29], v[225:226], s[2:3], v[28:29]
	s_wait_loadcnt 0x1
	v_mul_f64_e32 v[128:129], v[118:119], v[106:107]
	s_delay_alu instid0(VALU_DEP_1) | instskip(SKIP_1) | instid1(VALU_DEP_1)
	v_fma_f64 v[185:186], v[116:117], v[104:105], -v[128:129]
	v_mul_f64_e32 v[116:117], v[116:117], v[106:107]
	v_fma_f64 v[187:188], v[118:119], v[104:105], v[116:117]
	s_wait_loadcnt_dscnt 0x0
	v_mul_f64_e32 v[116:117], v[122:123], v[102:103]
	s_delay_alu instid0(VALU_DEP_1) | instskip(SKIP_1) | instid1(VALU_DEP_2)
	v_fma_f64 v[189:190], v[120:121], v[100:101], -v[116:117]
	v_mul_f64_e32 v[116:117], v[120:121], v[102:103]
	v_add_f64_e32 v[237:238], v[185:186], v[189:190]
	s_delay_alu instid0(VALU_DEP_2) | instskip(SKIP_2) | instid1(VALU_DEP_3)
	v_fma_f64 v[191:192], v[122:123], v[100:101], v[116:117]
	v_add_f64_e64 v[116:117], v[126:127], -v[156:157]
	v_add_f64_e64 v[241:242], v[185:186], -v[189:190]
	;; [unrolled: 1-line block ×3, first 2 shown]
	s_delay_alu instid0(VALU_DEP_3)
	v_mul_f64_e32 v[118:119], s[26:27], v[116:117]
	v_mul_f64_e32 v[120:121], s[22:23], v[116:117]
	;; [unrolled: 1-line block ×5, first 2 shown]
	v_add_f64_e32 v[243:244], v[187:188], v[191:192]
	v_mul_f64_e32 v[245:246], s[28:29], v[241:242]
	v_mul_f64_e32 v[239:240], s[28:29], v[235:236]
	v_fma_f64 v[132:133], v[130:131], s[18:19], -v[118:119]
	v_fma_f64 v[118:119], v[130:131], s[18:19], v[118:119]
	v_fma_f64 v[134:135], v[130:131], s[14:15], -v[120:121]
	v_fma_f64 v[120:121], v[130:131], s[14:15], v[120:121]
	;; [unrolled: 2-line block ×5, first 2 shown]
	v_add_f64_e64 v[130:131], v[124:125], -v[158:159]
	v_mul_f64_e32 v[12:13], s[36:37], v[235:236]
	v_mul_f64_e32 v[0:1], s[24:25], v[235:236]
	v_add_f64_e32 v[203:204], v[112:113], v[132:133]
	v_add_f64_e32 v[118:119], v[112:113], v[118:119]
	;; [unrolled: 1-line block ×8, first 2 shown]
	v_mul_f64_e32 v[142:143], s[26:27], v[130:131]
	v_mul_f64_e32 v[144:145], s[22:23], v[130:131]
	;; [unrolled: 1-line block ×5, first 2 shown]
	v_fma_f64 v[14:15], v[237:238], s[18:19], -v[12:13]
	v_fma_f64 v[2:3], v[237:238], s[10:11], -v[0:1]
	v_fma_f64 v[0:1], v[237:238], s[10:11], v[0:1]
	v_fma_f64 v[197:198], v[150:151], s[18:19], -v[142:143]
	v_fma_f64 v[152:153], v[150:151], s[14:15], v[144:145]
	;; [unrolled: 2-line block ×6, first 2 shown]
	v_add_f64_e32 v[124:125], v[114:115], v[197:198]
	v_add_f64_e32 v[132:133], v[114:115], v[152:153]
	;; [unrolled: 1-line block ×6, first 2 shown]
	v_add_f64_e64 v[144:145], v[160:161], -v[167:168]
	v_add_f64_e32 v[154:155], v[114:115], v[195:196]
	v_add_f64_e32 v[193:194], v[114:115], v[130:131]
	;; [unrolled: 1-line block ×4, first 2 shown]
	v_add_f64_e64 v[142:143], v[162:163], -v[165:166]
	v_add_f64_e32 v[152:153], v[112:113], v[128:129]
	v_add_f64_e32 v[112:113], v[112:113], v[116:117]
	v_add_f64_e64 v[146:147], v[169:170], -v[175:176]
	v_mul_f64_e32 v[213:214], s[22:23], v[144:145]
	v_mul_f64_e32 v[249:250], s[24:25], v[144:145]
	;; [unrolled: 1-line block ×4, first 2 shown]
	s_mov_b32 s23, 0x3fed1bb4
	v_mul_f64_e32 v[221:222], s[20:21], v[146:147]
	v_mul_f64_e32 v[253:254], s[30:31], v[146:147]
	s_wait_alu 0xfffe
	v_mul_f64_e32 v[32:33], s[22:23], v[235:236]
	v_mul_f64_e32 v[223:224], s[22:23], v[223:224]
	;; [unrolled: 1-line block ×3, first 2 shown]
	v_fma_f64 v[116:117], v[207:208], s[14:15], v[209:210]
	s_delay_alu instid0(VALU_DEP_4) | instskip(NEXT) | instid1(VALU_DEP_2)
	v_fma_f64 v[34:35], v[237:238], s[14:15], -v[32:33]
	v_add_f64_e32 v[116:117], v[116:117], v[118:119]
	v_fma_f64 v[118:119], v[211:212], s[14:15], -v[213:214]
	s_delay_alu instid0(VALU_DEP_1) | instskip(SKIP_1) | instid1(VALU_DEP_1)
	v_add_f64_e32 v[118:119], v[118:119], v[124:125]
	v_add_f64_e64 v[124:125], v[171:172], -v[173:174]
	v_mul_f64_e32 v[217:218], s[20:21], v[124:125]
	v_mul_f64_e32 v[251:252], s[30:31], v[124:125]
	;; [unrolled: 1-line block ×5, first 2 shown]
	v_fma_f64 v[128:129], v[215:216], s[16:17], v[217:218]
	v_fma_f64 v[130:131], v[215:216], s[2:3], -v[251:252]
	v_fma_f64 v[18:19], v[215:216], s[14:15], -v[16:17]
	v_fma_f64 v[26:27], v[215:216], s[18:19], -v[24:25]
	v_fma_f64 v[24:25], v[215:216], s[18:19], v[24:25]
	v_fma_f64 v[16:17], v[215:216], s[14:15], v[16:17]
	v_add_f64_e32 v[116:117], v[128:129], v[116:117]
	v_fma_f64 v[128:129], v[219:220], s[16:17], -v[221:222]
	s_delay_alu instid0(VALU_DEP_1) | instskip(SKIP_1) | instid1(VALU_DEP_1)
	v_add_f64_e32 v[118:119], v[128:129], v[118:119]
	v_fma_f64 v[128:129], v[225:226], s[10:11], v[227:228]
	v_add_f64_e32 v[116:117], v[128:129], v[116:117]
	v_fma_f64 v[128:129], v[231:232], s[10:11], -v[233:234]
	s_delay_alu instid0(VALU_DEP_1) | instskip(SKIP_1) | instid1(VALU_DEP_1)
	v_add_f64_e32 v[118:119], v[128:129], v[118:119]
	;; [unrolled: 5-line block ×3, first 2 shown]
	v_fma_f64 v[128:129], v[207:208], s[10:11], -v[247:248]
	v_add_f64_e32 v[126:127], v[128:129], v[126:127]
	v_fma_f64 v[128:129], v[211:212], s[10:11], v[249:250]
	s_delay_alu instid0(VALU_DEP_2) | instskip(NEXT) | instid1(VALU_DEP_2)
	v_add_f64_e32 v[126:127], v[130:131], v[126:127]
	v_add_f64_e32 v[128:129], v[128:129], v[132:133]
	v_fma_f64 v[130:131], v[219:220], s[2:3], v[253:254]
	s_delay_alu instid0(VALU_DEP_3) | instskip(SKIP_1) | instid1(VALU_DEP_3)
	v_add_f64_e32 v[6:7], v[6:7], v[126:127]
	v_mul_f64_e32 v[126:127], s[30:31], v[144:145]
	v_add_f64_e32 v[128:129], v[130:131], v[128:129]
	s_delay_alu instid0(VALU_DEP_2) | instskip(NEXT) | instid1(VALU_DEP_2)
	v_fma_f64 v[132:133], v[211:212], s[2:3], v[126:127]
	v_add_f64_e32 v[10:11], v[10:11], v[128:129]
	v_add_f64_e32 v[128:129], v[14:15], v[6:7]
	v_mul_f64_e32 v[6:7], s[36:37], v[241:242]
	s_delay_alu instid0(VALU_DEP_4) | instskip(NEXT) | instid1(VALU_DEP_2)
	v_add_f64_e32 v[132:133], v[132:133], v[136:137]
	v_fma_f64 v[14:15], v[243:244], s[18:19], v[6:7]
	v_fma_f64 v[6:7], v[243:244], s[18:19], -v[6:7]
	s_delay_alu instid0(VALU_DEP_2) | instskip(SKIP_1) | instid1(VALU_DEP_1)
	v_add_f64_e32 v[130:131], v[14:15], v[10:11]
	v_mul_f64_e32 v[10:11], s[30:31], v[142:143]
	v_fma_f64 v[14:15], v[207:208], s[2:3], -v[10:11]
	v_fma_f64 v[10:11], v[207:208], s[2:3], v[10:11]
	s_delay_alu instid0(VALU_DEP_2) | instskip(NEXT) | instid1(VALU_DEP_2)
	v_add_f64_e32 v[14:15], v[14:15], v[134:135]
	v_add_f64_e32 v[10:11], v[10:11], v[122:123]
	s_delay_alu instid0(VALU_DEP_2) | instskip(SKIP_1) | instid1(VALU_DEP_3)
	v_add_f64_e32 v[14:15], v[18:19], v[14:15]
	v_mul_f64_e32 v[18:19], s[22:23], v[146:147]
	v_add_f64_e32 v[10:11], v[16:17], v[10:11]
	s_delay_alu instid0(VALU_DEP_3) | instskip(NEXT) | instid1(VALU_DEP_3)
	v_add_f64_e32 v[14:15], v[22:23], v[14:15]
	v_fma_f64 v[134:135], v[219:220], s[14:15], v[18:19]
	v_mul_f64_e32 v[22:23], s[26:27], v[229:230]
	v_fma_f64 v[16:17], v[219:220], s[14:15], -v[18:19]
	s_delay_alu instid0(VALU_DEP_3) | instskip(NEXT) | instid1(VALU_DEP_3)
	v_add_f64_e32 v[132:133], v[134:135], v[132:133]
	v_fma_f64 v[134:135], v[231:232], s[18:19], v[22:23]
	s_delay_alu instid0(VALU_DEP_1) | instskip(SKIP_2) | instid1(VALU_DEP_1)
	v_add_f64_e32 v[134:135], v[134:135], v[132:133]
	v_add_f64_e32 v[132:133], v[2:3], v[14:15]
	v_mul_f64_e32 v[2:3], s[24:25], v[241:242]
	v_fma_f64 v[14:15], v[243:244], s[10:11], v[2:3]
	v_fma_f64 v[2:3], v[243:244], s[10:11], -v[2:3]
	s_delay_alu instid0(VALU_DEP_2) | instskip(SKIP_1) | instid1(VALU_DEP_1)
	v_add_f64_e32 v[134:135], v[14:15], v[134:135]
	v_mul_f64_e32 v[14:15], s[34:35], v[142:143]
	v_fma_f64 v[136:137], v[207:208], s[16:17], -v[14:15]
	v_fma_f64 v[14:15], v[207:208], s[16:17], v[14:15]
	s_delay_alu instid0(VALU_DEP_2) | instskip(SKIP_1) | instid1(VALU_DEP_3)
	v_add_f64_e32 v[136:137], v[136:137], v[138:139]
	v_mul_f64_e32 v[138:139], s[34:35], v[144:145]
	v_add_f64_e32 v[14:15], v[14:15], v[152:153]
	s_delay_alu instid0(VALU_DEP_3) | instskip(NEXT) | instid1(VALU_DEP_3)
	v_add_f64_e32 v[26:27], v[26:27], v[136:137]
	v_fma_f64 v[148:149], v[211:212], s[16:17], v[138:139]
	v_mul_f64_e32 v[136:137], s[26:27], v[146:147]
	s_delay_alu instid0(VALU_DEP_4) | instskip(NEXT) | instid1(VALU_DEP_4)
	v_add_f64_e32 v[14:15], v[24:25], v[14:15]
	v_add_f64_e32 v[26:27], v[30:31], v[26:27]
	s_delay_alu instid0(VALU_DEP_4) | instskip(NEXT) | instid1(VALU_DEP_4)
	v_add_f64_e32 v[148:149], v[148:149], v[150:151]
	v_fma_f64 v[150:151], v[219:220], s[18:19], v[136:137]
	v_mul_f64_e32 v[30:31], s[28:29], v[229:230]
	v_mul_f64_e32 v[229:230], s[22:23], v[229:230]
	v_fma_f64 v[24:25], v[219:220], s[18:19], -v[136:137]
	v_add_f64_e32 v[14:15], v[28:29], v[14:15]
	v_add_f64_e32 v[148:149], v[150:151], v[148:149]
	v_fma_f64 v[150:151], v[231:232], s[2:3], v[30:31]
	v_fma_f64 v[28:29], v[231:232], s[2:3], -v[30:31]
	s_delay_alu instid0(VALU_DEP_2) | instskip(SKIP_3) | instid1(VALU_DEP_2)
	v_add_f64_e32 v[150:151], v[150:151], v[148:149]
	v_add_f64_e32 v[148:149], v[34:35], v[26:27]
	v_mul_f64_e32 v[26:27], s[22:23], v[241:242]
	v_mul_f64_e32 v[241:242], s[20:21], v[241:242]
	v_fma_f64 v[34:35], v[243:244], s[14:15], v[26:27]
	v_fma_f64 v[26:27], v[243:244], s[14:15], -v[26:27]
	s_delay_alu instid0(VALU_DEP_2) | instskip(SKIP_1) | instid1(VALU_DEP_1)
	v_add_f64_e32 v[150:151], v[34:35], v[150:151]
	v_mul_f64_e32 v[34:35], s[36:37], v[142:143]
	v_fma_f64 v[142:143], v[207:208], s[18:19], -v[34:35]
	v_fma_f64 v[34:35], v[207:208], s[18:19], v[34:35]
	s_delay_alu instid0(VALU_DEP_2) | instskip(SKIP_1) | instid1(VALU_DEP_3)
	v_add_f64_e32 v[140:141], v[142:143], v[140:141]
	v_mul_f64_e32 v[142:143], s[36:37], v[144:145]
	v_add_f64_e32 v[34:35], v[34:35], v[112:113]
	s_delay_alu instid0(VALU_DEP_2) | instskip(SKIP_2) | instid1(VALU_DEP_3)
	v_fma_f64 v[144:145], v[211:212], s[18:19], v[142:143]
	v_fma_f64 v[112:113], v[211:212], s[18:19], -v[142:143]
	v_fma_f64 v[142:143], v[243:244], s[16:17], -v[241:242]
	v_add_f64_e32 v[144:145], v[144:145], v[154:155]
	v_fma_f64 v[154:155], v[215:216], s[10:11], -v[124:125]
	v_fma_f64 v[124:125], v[215:216], s[10:11], v[124:125]
	v_add_f64_e32 v[112:113], v[112:113], v[193:194]
	s_delay_alu instid0(VALU_DEP_3) | instskip(SKIP_1) | instid1(VALU_DEP_4)
	v_add_f64_e32 v[140:141], v[154:155], v[140:141]
	v_mul_f64_e32 v[154:155], s[24:25], v[146:147]
	v_add_f64_e32 v[34:35], v[124:125], v[34:35]
	s_delay_alu instid0(VALU_DEP_2) | instskip(SKIP_1) | instid1(VALU_DEP_2)
	v_fma_f64 v[146:147], v[219:220], s[10:11], v[154:155]
	v_fma_f64 v[124:125], v[219:220], s[10:11], -v[154:155]
	v_add_f64_e32 v[144:145], v[146:147], v[144:145]
	v_fma_f64 v[146:147], v[225:226], s[14:15], -v[223:224]
	s_delay_alu instid0(VALU_DEP_3) | instskip(SKIP_1) | instid1(VALU_DEP_3)
	v_add_f64_e32 v[112:113], v[124:125], v[112:113]
	v_fma_f64 v[124:125], v[225:226], s[14:15], v[223:224]
	v_add_f64_e32 v[140:141], v[146:147], v[140:141]
	v_fma_f64 v[146:147], v[231:232], s[14:15], v[229:230]
	s_delay_alu instid0(VALU_DEP_3) | instskip(SKIP_1) | instid1(VALU_DEP_3)
	v_add_f64_e32 v[34:35], v[124:125], v[34:35]
	v_fma_f64 v[124:125], v[231:232], s[14:15], -v[229:230]
	v_add_f64_e32 v[146:147], v[146:147], v[144:145]
	v_fma_f64 v[144:145], v[237:238], s[16:17], -v[235:236]
	s_delay_alu instid0(VALU_DEP_3) | instskip(SKIP_1) | instid1(VALU_DEP_3)
	v_add_f64_e32 v[112:113], v[124:125], v[112:113]
	v_fma_f64 v[124:125], v[237:238], s[16:17], v[235:236]
	v_add_f64_e32 v[144:145], v[144:145], v[140:141]
	v_fma_f64 v[140:141], v[243:244], s[16:17], v[241:242]
	s_delay_alu instid0(VALU_DEP_4) | instskip(NEXT) | instid1(VALU_DEP_2)
	v_add_f64_e32 v[142:143], v[142:143], v[112:113]
	v_add_f64_e32 v[146:147], v[140:141], v[146:147]
	;; [unrolled: 1-line block ×3, first 2 shown]
	v_fma_f64 v[34:35], v[211:212], s[16:17], -v[138:139]
	s_delay_alu instid0(VALU_DEP_1) | instskip(NEXT) | instid1(VALU_DEP_1)
	v_add_f64_e32 v[34:35], v[34:35], v[195:196]
	v_add_f64_e32 v[24:25], v[24:25], v[34:35]
	s_delay_alu instid0(VALU_DEP_1) | instskip(SKIP_1) | instid1(VALU_DEP_2)
	v_add_f64_e32 v[24:25], v[28:29], v[24:25]
	v_fma_f64 v[28:29], v[237:238], s[14:15], v[32:33]
	v_add_f64_e32 v[138:139], v[26:27], v[24:25]
	s_delay_alu instid0(VALU_DEP_2) | instskip(SKIP_1) | instid1(VALU_DEP_1)
	v_add_f64_e32 v[136:137], v[28:29], v[14:15]
	v_fma_f64 v[14:15], v[211:212], s[2:3], -v[126:127]
	v_add_f64_e32 v[14:15], v[14:15], v[197:198]
	s_delay_alu instid0(VALU_DEP_1) | instskip(SKIP_1) | instid1(VALU_DEP_1)
	v_add_f64_e32 v[14:15], v[16:17], v[14:15]
	v_fma_f64 v[16:17], v[225:226], s[18:19], v[20:21]
	v_add_f64_e32 v[10:11], v[16:17], v[10:11]
	v_fma_f64 v[16:17], v[231:232], s[18:19], -v[22:23]
	s_delay_alu instid0(VALU_DEP_2) | instskip(NEXT) | instid1(VALU_DEP_2)
	v_add_f64_e32 v[124:125], v[0:1], v[10:11]
	v_add_f64_e32 v[14:15], v[16:17], v[14:15]
	v_fma_f64 v[0:1], v[207:208], s[10:11], v[247:248]
	v_fma_f64 v[10:11], v[215:216], s[2:3], v[251:252]
	s_delay_alu instid0(VALU_DEP_3) | instskip(NEXT) | instid1(VALU_DEP_3)
	v_add_f64_e32 v[126:127], v[2:3], v[14:15]
	v_add_f64_e32 v[0:1], v[0:1], v[120:121]
	v_fma_f64 v[2:3], v[211:212], s[10:11], -v[249:250]
	s_delay_alu instid0(VALU_DEP_2) | instskip(NEXT) | instid1(VALU_DEP_2)
	v_add_f64_e32 v[0:1], v[10:11], v[0:1]
	v_add_f64_e32 v[2:3], v[2:3], v[205:206]
	v_fma_f64 v[10:11], v[219:220], s[2:3], -v[253:254]
	s_delay_alu instid0(VALU_DEP_3) | instskip(SKIP_1) | instid1(VALU_DEP_3)
	v_add_f64_e32 v[0:1], v[4:5], v[0:1]
	v_fma_f64 v[4:5], v[231:232], s[16:17], -v[8:9]
	v_add_f64_e32 v[2:3], v[10:11], v[2:3]
	v_fma_f64 v[8:9], v[225:226], s[10:11], -v[227:228]
	v_fma_f64 v[10:11], v[231:232], s[10:11], v[233:234]
	s_delay_alu instid0(VALU_DEP_3) | instskip(SKIP_1) | instid1(VALU_DEP_2)
	v_add_f64_e32 v[2:3], v[4:5], v[2:3]
	v_fma_f64 v[4:5], v[237:238], s[18:19], v[12:13]
	v_add_f64_e32 v[122:123], v[6:7], v[2:3]
	s_delay_alu instid0(VALU_DEP_2) | instskip(SKIP_4) | instid1(VALU_DEP_4)
	v_add_f64_e32 v[120:121], v[4:5], v[0:1]
	v_fma_f64 v[0:1], v[207:208], s[14:15], -v[209:210]
	v_fma_f64 v[2:3], v[211:212], s[14:15], v[213:214]
	v_fma_f64 v[4:5], v[215:216], s[16:17], -v[217:218]
	v_fma_f64 v[6:7], v[219:220], s[16:17], v[221:222]
	v_add_f64_e32 v[0:1], v[0:1], v[203:204]
	s_delay_alu instid0(VALU_DEP_4) | instskip(NEXT) | instid1(VALU_DEP_2)
	v_add_f64_e32 v[2:3], v[2:3], v[114:115]
	v_add_f64_e32 v[0:1], v[4:5], v[0:1]
	s_delay_alu instid0(VALU_DEP_2) | instskip(SKIP_2) | instid1(VALU_DEP_4)
	v_add_f64_e32 v[2:3], v[6:7], v[2:3]
	v_fma_f64 v[4:5], v[237:238], s[2:3], -v[239:240]
	v_fma_f64 v[6:7], v[243:244], s[2:3], v[245:246]
	v_add_f64_e32 v[0:1], v[8:9], v[0:1]
	s_delay_alu instid0(VALU_DEP_4) | instskip(NEXT) | instid1(VALU_DEP_2)
	v_add_f64_e32 v[2:3], v[10:11], v[2:3]
	v_add_f64_e32 v[152:153], v[4:5], v[0:1]
	s_delay_alu instid0(VALU_DEP_2) | instskip(SKIP_2) | instid1(VALU_DEP_2)
	v_add_f64_e32 v[154:155], v[6:7], v[2:3]
	v_add_f64_e32 v[0:1], v[199:200], v[160:161]
	;; [unrolled: 1-line block ×4, first 2 shown]
	s_delay_alu instid0(VALU_DEP_2) | instskip(NEXT) | instid1(VALU_DEP_2)
	v_add_f64_e32 v[2:3], v[2:3], v[171:172]
	v_add_f64_e32 v[0:1], v[0:1], v[177:178]
	s_delay_alu instid0(VALU_DEP_2) | instskip(NEXT) | instid1(VALU_DEP_2)
	v_add_f64_e32 v[2:3], v[2:3], v[179:180]
	v_add_f64_e32 v[0:1], v[0:1], v[185:186]
	;; [unrolled: 3-line block ×7, first 2 shown]
	s_delay_alu instid0(VALU_DEP_2)
	v_add_f64_e32 v[114:115], v[2:3], v[156:157]
	ds_store_b128 v255, v[128:131] offset:4992
	ds_store_b128 v255, v[132:135] offset:7488
	;; [unrolled: 1-line block ×10, first 2 shown]
	ds_store_b128 v255, v[112:115]
	global_wb scope:SCOPE_SE
	s_wait_dscnt 0x0
	s_barrier_signal -1
	s_barrier_wait -1
	global_inv scope:SCOPE_SE
	s_and_saveexec_b32 s10, vcc_lo
	s_cbranch_execz .LBB0_17
; %bb.16:
	global_load_b128 v[156:159], v255, s[8:9] offset:27456
	s_add_nc_u64 s[2:3], s[8:9], 0x6b40
	s_clause 0x3
	global_load_b128 v[160:163], v255, s[2:3] offset:2112
	global_load_b128 v[165:168], v255, s[2:3] offset:4224
	;; [unrolled: 1-line block ×4, first 2 shown]
	ds_load_b128 v[177:180], v255
	ds_load_b128 v[181:184], v255 offset:2112
	ds_load_b128 v[185:188], v255 offset:25344
	s_wait_loadcnt_dscnt 0x301
	v_mul_f64_e32 v[4:5], v[183:184], v[162:163]
	v_mul_f64_e32 v[0:1], v[179:180], v[158:159]
	;; [unrolled: 1-line block ×4, first 2 shown]
	s_delay_alu instid0(VALU_DEP_4) | instskip(NEXT) | instid1(VALU_DEP_4)
	v_fma_f64 v[181:182], v[181:182], v[160:161], -v[4:5]
	v_fma_f64 v[177:178], v[177:178], v[156:157], -v[0:1]
	s_delay_alu instid0(VALU_DEP_4)
	v_fma_f64 v[179:180], v[179:180], v[156:157], v[2:3]
	ds_load_b128 v[156:159], v255 offset:4224
	ds_load_b128 v[189:192], v255 offset:6336
	v_fma_f64 v[183:184], v[183:184], v[160:161], v[6:7]
	global_load_b128 v[160:163], v255, s[2:3] offset:10560
	s_wait_loadcnt_dscnt 0x301
	v_mul_f64_e32 v[0:1], v[158:159], v[167:168]
	v_mul_f64_e32 v[2:3], v[156:157], v[167:168]
	s_wait_loadcnt_dscnt 0x200
	v_mul_f64_e32 v[4:5], v[191:192], v[171:172]
	v_mul_f64_e32 v[6:7], v[189:190], v[171:172]
	s_delay_alu instid0(VALU_DEP_4) | instskip(NEXT) | instid1(VALU_DEP_4)
	v_fma_f64 v[156:157], v[156:157], v[165:166], -v[0:1]
	v_fma_f64 v[158:159], v[158:159], v[165:166], v[2:3]
	ds_load_b128 v[165:168], v255 offset:8448
	v_fma_f64 v[189:190], v[189:190], v[169:170], -v[4:5]
	v_fma_f64 v[191:192], v[191:192], v[169:170], v[6:7]
	ds_load_b128 v[169:172], v255 offset:10560
	s_wait_loadcnt_dscnt 0x101
	v_mul_f64_e32 v[0:1], v[167:168], v[175:176]
	v_mul_f64_e32 v[2:3], v[165:166], v[175:176]
	s_delay_alu instid0(VALU_DEP_2) | instskip(NEXT) | instid1(VALU_DEP_2)
	v_fma_f64 v[165:166], v[165:166], v[173:174], -v[0:1]
	v_fma_f64 v[167:168], v[167:168], v[173:174], v[2:3]
	global_load_b128 v[173:176], v255, s[2:3] offset:12672
	s_wait_loadcnt_dscnt 0x100
	v_mul_f64_e32 v[0:1], v[171:172], v[162:163]
	v_mul_f64_e32 v[2:3], v[169:170], v[162:163]
	s_delay_alu instid0(VALU_DEP_2) | instskip(NEXT) | instid1(VALU_DEP_2)
	v_fma_f64 v[169:170], v[169:170], v[160:161], -v[0:1]
	v_fma_f64 v[171:172], v[171:172], v[160:161], v[2:3]
	ds_load_b128 v[160:163], v255 offset:12672
	ds_load_b128 v[193:196], v255 offset:14784
	s_wait_loadcnt_dscnt 0x1
	v_mul_f64_e32 v[0:1], v[162:163], v[175:176]
	v_mul_f64_e32 v[2:3], v[160:161], v[175:176]
	s_delay_alu instid0(VALU_DEP_2) | instskip(NEXT) | instid1(VALU_DEP_2)
	v_fma_f64 v[160:161], v[160:161], v[173:174], -v[0:1]
	v_fma_f64 v[162:163], v[162:163], v[173:174], v[2:3]
	s_clause 0x1
	global_load_b128 v[173:176], v255, s[2:3] offset:14784
	global_load_b128 v[197:200], v255, s[2:3] offset:16896
	s_wait_loadcnt_dscnt 0x100
	v_mul_f64_e32 v[0:1], v[195:196], v[175:176]
	v_mul_f64_e32 v[2:3], v[193:194], v[175:176]
	s_delay_alu instid0(VALU_DEP_2) | instskip(NEXT) | instid1(VALU_DEP_2)
	v_fma_f64 v[193:194], v[193:194], v[173:174], -v[0:1]
	v_fma_f64 v[195:196], v[195:196], v[173:174], v[2:3]
	ds_load_b128 v[173:176], v255 offset:16896
	ds_load_b128 v[201:204], v255 offset:19008
	s_wait_loadcnt_dscnt 0x1
	v_mul_f64_e32 v[0:1], v[175:176], v[199:200]
	v_mul_f64_e32 v[2:3], v[173:174], v[199:200]
	s_delay_alu instid0(VALU_DEP_2) | instskip(NEXT) | instid1(VALU_DEP_2)
	v_fma_f64 v[173:174], v[173:174], v[197:198], -v[0:1]
	v_fma_f64 v[175:176], v[175:176], v[197:198], v[2:3]
	s_clause 0x1
	global_load_b128 v[197:200], v255, s[2:3] offset:19008
	global_load_b128 v[205:208], v255, s[2:3] offset:21120
	ds_load_b128 v[209:212], v255 offset:21120
	ds_load_b128 v[213:216], v255 offset:23232
	s_wait_loadcnt_dscnt 0x102
	v_mul_f64_e32 v[0:1], v[203:204], v[199:200]
	v_mul_f64_e32 v[2:3], v[201:202], v[199:200]
	s_delay_alu instid0(VALU_DEP_2) | instskip(SKIP_2) | instid1(VALU_DEP_3)
	v_fma_f64 v[199:200], v[201:202], v[197:198], -v[0:1]
	s_wait_loadcnt_dscnt 0x1
	v_mul_f64_e32 v[0:1], v[211:212], v[207:208]
	v_fma_f64 v[201:202], v[203:204], v[197:198], v[2:3]
	v_mul_f64_e32 v[2:3], v[209:210], v[207:208]
	s_delay_alu instid0(VALU_DEP_3)
	v_fma_f64 v[203:204], v[209:210], v[205:206], -v[0:1]
	s_clause 0x1
	global_load_b128 v[207:210], v255, s[2:3] offset:23232
	global_load_b128 v[217:220], v255, s[2:3] offset:25344
	v_fma_f64 v[205:206], v[211:212], v[205:206], v[2:3]
	s_wait_loadcnt_dscnt 0x100
	v_mul_f64_e32 v[0:1], v[215:216], v[209:210]
	v_mul_f64_e32 v[2:3], v[213:214], v[209:210]
	s_delay_alu instid0(VALU_DEP_2) | instskip(NEXT) | instid1(VALU_DEP_2)
	v_fma_f64 v[209:210], v[213:214], v[207:208], -v[0:1]
	v_fma_f64 v[211:212], v[215:216], v[207:208], v[2:3]
	s_wait_loadcnt 0x0
	v_mul_f64_e32 v[0:1], v[187:188], v[219:220]
	v_mul_f64_e32 v[2:3], v[185:186], v[219:220]
	s_delay_alu instid0(VALU_DEP_2) | instskip(NEXT) | instid1(VALU_DEP_2)
	v_fma_f64 v[185:186], v[185:186], v[217:218], -v[0:1]
	v_fma_f64 v[187:188], v[187:188], v[217:218], v[2:3]
	ds_store_b128 v255, v[177:180]
	ds_store_b128 v255, v[181:184] offset:2112
	ds_store_b128 v255, v[156:159] offset:4224
	;; [unrolled: 1-line block ×12, first 2 shown]
.LBB0_17:
	s_wait_alu 0xfffe
	s_or_b32 exec_lo, exec_lo, s10
	global_wb scope:SCOPE_SE
	s_wait_dscnt 0x0
	s_barrier_signal -1
	s_barrier_wait -1
	global_inv scope:SCOPE_SE
	s_and_saveexec_b32 s2, vcc_lo
	s_cbranch_execz .LBB0_19
; %bb.18:
	ds_load_b128 v[112:115], v255
	ds_load_b128 v[152:155], v255 offset:2112
	ds_load_b128 v[128:131], v255 offset:4224
	;; [unrolled: 1-line block ×12, first 2 shown]
	s_wait_dscnt 0x0
	scratch_store_b128 off, v[0:3], off offset:12 ; 16-byte Folded Spill
.LBB0_19:
	s_wait_alu 0xfffe
	s_or_b32 exec_lo, exec_lo, s2
	scratch_load_b128 v[6:9], off, off offset:12 ; 16-byte Folded Reload
	s_mov_b32 s10, 0x42a4c3d2
	s_mov_b32 s11, 0xbfea55e2
	v_add_f64_e64 v[167:168], v[130:131], -v[110:111]
	s_mov_b32 s2, 0x1ea71119
	s_mov_b32 s16, 0x2ef20147
	;; [unrolled: 1-line block ×4, first 2 shown]
	v_add_f64_e32 v[165:166], v[128:129], v[108:109]
	s_mov_b32 s14, 0xb2365da1
	s_mov_b32 s15, 0xbfd6b1d8
	v_add_f64_e32 v[169:170], v[130:131], v[110:111]
	v_add_f64_e64 v[175:176], v[128:129], -v[108:109]
	v_add_f64_e64 v[173:174], v[134:135], -v[118:119]
	s_mov_b32 s20, 0x4bc48dbf
	s_mov_b32 s21, 0xbfcea1e5
	v_add_f64_e32 v[171:172], v[132:133], v[116:117]
	v_add_f64_e32 v[177:178], v[134:135], v[118:119]
	s_mov_b32 s18, 0x93053d00
	s_mov_b32 s19, 0xbfef11f4
	v_add_f64_e64 v[183:184], v[132:133], -v[116:117]
	v_add_f64_e64 v[181:182], v[150:151], -v[122:123]
	s_mov_b32 s28, 0x24c2f84
	s_mov_b32 s29, 0x3fe5384d
	v_add_f64_e32 v[179:180], v[148:149], v[120:121]
	v_add_f64_e32 v[185:186], v[150:151], v[122:123]
	s_mov_b32 s22, 0xd0032e0c
	s_mov_b32 s23, 0xbfe7f3cc
	v_add_f64_e64 v[197:198], v[148:149], -v[120:121]
	v_add_f64_e64 v[195:196], v[146:147], -v[126:127]
	s_mov_b32 s26, 0x66966769
	s_mov_b32 s27, 0xbfefc445
	s_mov_b32 s37, 0x3fefc445
	s_wait_alu 0xfffe
	s_mov_b32 s36, s26
	v_add_f64_e32 v[189:190], v[144:145], v[124:125]
	v_add_f64_e32 v[191:192], v[146:147], v[126:127]
	s_mov_b32 s24, 0xebaa3ed8
	s_mov_b32 s25, 0x3fbedb7d
	v_add_f64_e64 v[201:202], v[144:145], -v[124:125]
	v_add_f64_e64 v[203:204], v[142:143], -v[138:139]
	s_mov_b32 s41, 0x3fddbe06
	v_mul_f64_e32 v[10:11], s[16:17], v[167:168]
	s_mov_b32 s40, 0x4267c47c
	v_add_f64_e32 v[193:194], v[140:141], v[136:137]
	v_add_f64_e32 v[199:200], v[142:143], v[138:139]
	s_mov_b32 s30, 0xe00740e9
	s_mov_b32 s31, 0x3fec55a7
	v_add_f64_e64 v[205:206], v[140:141], -v[136:137]
	v_mul_f64_e32 v[227:228], s[20:21], v[167:168]
	v_mul_f64_e32 v[12:13], s[14:15], v[169:170]
	;; [unrolled: 1-line block ×4, first 2 shown]
	s_mov_b32 s39, 0x3fedeba7
	s_mov_b32 s38, s16
	;; [unrolled: 1-line block ×3, first 2 shown]
	v_mul_f64_e32 v[219:220], s[18:19], v[177:178]
	s_wait_alu 0xfffe
	v_mul_f64_e32 v[235:236], s[38:39], v[173:174]
	v_mul_f64_e32 v[245:246], s[14:15], v[177:178]
	s_mov_b32 s34, s28
	v_mul_f64_e32 v[217:218], s[28:29], v[181:182]
	v_mul_f64_e32 v[237:238], s[40:41], v[181:182]
	global_wb scope:SCOPE_SE
	s_wait_loadcnt 0x0
	s_wait_storecnt 0x0
	s_barrier_signal -1
	v_mul_f64_e32 v[223:224], s[22:23], v[185:186]
	v_mul_f64_e32 v[243:244], s[30:31], v[185:186]
	s_barrier_wait -1
	global_inv scope:SCOPE_SE
	v_mul_f64_e32 v[221:222], s[36:37], v[195:196]
	v_mul_f64_e32 v[239:240], s[10:11], v[195:196]
	;; [unrolled: 1-line block ×5, first 2 shown]
	s_wait_alu 0xfffe
	v_mul_f64_e32 v[241:242], s[34:35], v[203:204]
	v_fma_f64 v[2:3], v[165:166], s[14:15], -v[10:11]
	v_mul_f64_e32 v[233:234], s[30:31], v[199:200]
	v_mul_f64_e32 v[249:250], s[22:23], v[199:200]
	v_fma_f64 v[4:5], v[175:176], s[16:17], v[12:13]
	v_add_f64_e64 v[209:210], v[154:155], -v[8:9]
	v_add_f64_e32 v[207:208], v[152:153], v[6:7]
	v_add_f64_e32 v[251:252], v[154:155], v[8:9]
	v_add_f64_e64 v[253:254], v[152:153], -v[6:7]
	s_delay_alu instid0(VALU_DEP_4) | instskip(SKIP_1) | instid1(VALU_DEP_4)
	v_mul_f64_e32 v[215:216], s[10:11], v[209:210]
	v_mul_f64_e32 v[211:212], s[26:27], v[209:210]
	;; [unrolled: 1-line block ×4, first 2 shown]
	s_delay_alu instid0(VALU_DEP_4) | instskip(NEXT) | instid1(VALU_DEP_1)
	v_fma_f64 v[0:1], v[207:208], s[2:3], -v[215:216]
	v_add_f64_e32 v[0:1], v[112:113], v[0:1]
	s_delay_alu instid0(VALU_DEP_1) | instskip(SKIP_1) | instid1(VALU_DEP_1)
	v_add_f64_e32 v[0:1], v[2:3], v[0:1]
	v_fma_f64 v[2:3], v[253:254], s[10:11], v[187:188]
	v_add_f64_e32 v[2:3], v[114:115], v[2:3]
	s_delay_alu instid0(VALU_DEP_1) | instskip(SKIP_1) | instid1(VALU_DEP_1)
	v_add_f64_e32 v[2:3], v[4:5], v[2:3]
	v_fma_f64 v[4:5], v[171:172], s[18:19], -v[14:15]
	v_add_f64_e32 v[0:1], v[4:5], v[0:1]
	v_fma_f64 v[4:5], v[183:184], s[20:21], v[219:220]
	s_delay_alu instid0(VALU_DEP_1) | instskip(SKIP_1) | instid1(VALU_DEP_1)
	v_add_f64_e32 v[2:3], v[4:5], v[2:3]
	v_fma_f64 v[4:5], v[179:180], s[22:23], -v[217:218]
	v_add_f64_e32 v[0:1], v[4:5], v[0:1]
	v_fma_f64 v[4:5], v[197:198], s[28:29], v[223:224]
	;; [unrolled: 5-line block ×4, first 2 shown]
	v_fma_f64 v[4:5], v[175:176], s[20:21], v[231:232]
	s_delay_alu instid0(VALU_DEP_2) | instskip(SKIP_2) | instid1(VALU_DEP_2)
	v_add_f64_e32 v[162:163], v[0:1], v[2:3]
	v_fma_f64 v[0:1], v[207:208], s[24:25], -v[211:212]
	v_fma_f64 v[2:3], v[165:166], s[18:19], -v[227:228]
	v_add_f64_e32 v[0:1], v[112:113], v[0:1]
	s_delay_alu instid0(VALU_DEP_1) | instskip(SKIP_1) | instid1(VALU_DEP_1)
	v_add_f64_e32 v[0:1], v[2:3], v[0:1]
	v_fma_f64 v[2:3], v[253:254], s[26:27], v[213:214]
	v_add_f64_e32 v[2:3], v[114:115], v[2:3]
	s_delay_alu instid0(VALU_DEP_1) | instskip(SKIP_1) | instid1(VALU_DEP_1)
	v_add_f64_e32 v[2:3], v[4:5], v[2:3]
	v_fma_f64 v[4:5], v[171:172], s[14:15], -v[235:236]
	v_add_f64_e32 v[0:1], v[4:5], v[0:1]
	v_fma_f64 v[4:5], v[183:184], s[38:39], v[245:246]
	s_delay_alu instid0(VALU_DEP_1) | instskip(SKIP_1) | instid1(VALU_DEP_1)
	v_add_f64_e32 v[2:3], v[4:5], v[2:3]
	v_fma_f64 v[4:5], v[179:180], s[30:31], -v[237:238]
	v_add_f64_e32 v[0:1], v[4:5], v[0:1]
	v_fma_f64 v[4:5], v[197:198], s[40:41], v[243:244]
	;; [unrolled: 5-line block ×4, first 2 shown]
	s_delay_alu instid0(VALU_DEP_1)
	v_add_f64_e32 v[158:159], v[0:1], v[2:3]
	s_and_saveexec_b32 s33, vcc_lo
	s_cbranch_execz .LBB0_21
; %bb.20:
	v_add_f64_e32 v[0:1], v[114:115], v[154:155]
	v_add_f64_e32 v[2:3], v[112:113], v[152:153]
	v_dual_mov_b32 v153, v13 :: v_dual_mov_b32 v152, v12
	v_mul_f64_e32 v[12:13], s[40:41], v[197:198]
	v_dual_mov_b32 v155, v15 :: v_dual_mov_b32 v154, v14
	v_mul_f64_e32 v[14:15], s[40:41], v[205:206]
	v_mul_f64_e32 v[16:17], s[40:41], v[175:176]
	;; [unrolled: 1-line block ×7, first 2 shown]
	s_mov_b32 s41, 0xbfddbe06
	v_mul_f64_e32 v[28:29], s[20:21], v[253:254]
	v_mul_f64_e32 v[30:31], s[34:35], v[253:254]
	;; [unrolled: 1-line block ×3, first 2 shown]
	s_wait_alu 0xfffe
	v_mul_f64_e32 v[34:35], s[40:41], v[253:254]
	s_mov_b32 s43, 0x3fcea1e5
	s_mov_b32 s42, s20
	v_add_f64_e32 v[0:1], v[0:1], v[130:131]
	v_add_f64_e32 v[2:3], v[2:3], v[128:129]
	v_add_f64_e64 v[12:13], v[243:244], -v[12:13]
	v_add_f64_e64 v[14:15], v[233:234], -v[14:15]
	s_delay_alu instid0(VALU_DEP_4) | instskip(NEXT) | instid1(VALU_DEP_4)
	v_add_f64_e32 v[0:1], v[0:1], v[134:135]
	v_add_f64_e32 v[2:3], v[2:3], v[132:133]
	s_delay_alu instid0(VALU_DEP_2) | instskip(NEXT) | instid1(VALU_DEP_2)
	v_add_f64_e32 v[0:1], v[0:1], v[150:151]
	v_add_f64_e32 v[2:3], v[2:3], v[148:149]
	v_dual_mov_b32 v151, v11 :: v_dual_mov_b32 v150, v10
	v_mul_f64_e32 v[10:11], s[2:3], v[207:208]
	v_mul_f64_e32 v[148:149], s[36:37], v[203:204]
	v_add_f64_e32 v[0:1], v[0:1], v[146:147]
	v_add_f64_e32 v[2:3], v[2:3], v[144:145]
	s_delay_alu instid0(VALU_DEP_4) | instskip(NEXT) | instid1(VALU_DEP_3)
	v_add_f64_e32 v[10:11], v[10:11], v[215:216]
	v_add_f64_e32 v[0:1], v[0:1], v[142:143]
	s_delay_alu instid0(VALU_DEP_3) | instskip(NEXT) | instid1(VALU_DEP_3)
	v_add_f64_e32 v[2:3], v[2:3], v[140:141]
	v_add_f64_e32 v[10:11], v[112:113], v[10:11]
	s_delay_alu instid0(VALU_DEP_3) | instskip(NEXT) | instid1(VALU_DEP_3)
	v_add_f64_e32 v[0:1], v[0:1], v[138:139]
	v_add_f64_e32 v[2:3], v[2:3], v[136:137]
	s_delay_alu instid0(VALU_DEP_2) | instskip(NEXT) | instid1(VALU_DEP_2)
	v_add_f64_e32 v[0:1], v[0:1], v[126:127]
	v_add_f64_e32 v[2:3], v[2:3], v[124:125]
	v_mul_f64_e32 v[124:125], s[16:17], v[209:210]
	v_mul_f64_e32 v[126:127], s[40:41], v[209:210]
	s_mov_b32 s41, 0x3fea55e2
	s_mov_b32 s40, s10
	s_delay_alu instid0(VALU_DEP_4) | instskip(NEXT) | instid1(VALU_DEP_4)
	v_add_f64_e32 v[0:1], v[0:1], v[122:123]
	v_add_f64_e32 v[2:3], v[2:3], v[120:121]
	v_mul_f64_e32 v[120:121], s[20:21], v[209:210]
	v_mul_f64_e32 v[122:123], s[34:35], v[209:210]
	v_fma_f64 v[132:133], v[207:208], s[14:15], -v[124:125]
	v_fma_f64 v[124:125], v[207:208], s[14:15], v[124:125]
	v_fma_f64 v[134:135], v[207:208], s[30:31], -v[126:127]
	v_fma_f64 v[126:127], v[207:208], s[30:31], v[126:127]
	v_add_f64_e32 v[0:1], v[0:1], v[118:119]
	v_add_f64_e32 v[2:3], v[2:3], v[116:117]
	v_fma_f64 v[128:129], v[207:208], s[18:19], -v[120:121]
	v_fma_f64 v[120:121], v[207:208], s[18:19], v[120:121]
	v_fma_f64 v[130:131], v[207:208], s[22:23], -v[122:123]
	v_fma_f64 v[122:123], v[207:208], s[22:23], v[122:123]
	v_fma_f64 v[116:117], v[251:252], s[14:15], v[32:33]
	v_fma_f64 v[32:33], v[251:252], s[14:15], -v[32:33]
	v_fma_f64 v[118:119], v[251:252], s[30:31], v[34:35]
	v_fma_f64 v[34:35], v[251:252], s[30:31], -v[34:35]
	v_add_f64_e32 v[140:141], v[112:113], v[132:133]
	v_add_f64_e32 v[132:133], v[112:113], v[124:125]
	v_add_f64_e32 v[146:147], v[112:113], v[134:135]
	v_add_f64_e32 v[142:143], v[112:113], v[126:127]
	v_mul_f64_e32 v[134:135], s[36:37], v[205:206]
	v_add_f64_e32 v[0:1], v[0:1], v[110:111]
	v_add_f64_e32 v[4:5], v[2:3], v[108:109]
	v_fma_f64 v[108:109], v[251:252], s[18:19], v[28:29]
	v_fma_f64 v[110:111], v[251:252], s[22:23], v[30:31]
	v_fma_f64 v[28:29], v[251:252], s[18:19], -v[28:29]
	v_fma_f64 v[30:31], v[251:252], s[22:23], -v[30:31]
	v_add_f64_e32 v[128:129], v[112:113], v[128:129]
	v_add_f64_e32 v[120:121], v[112:113], v[120:121]
	;; [unrolled: 1-line block ×10, first 2 shown]
	v_mul_f64_e32 v[6:7], s[24:25], v[207:208]
	v_mul_f64_e32 v[4:5], s[26:27], v[253:254]
	;; [unrolled: 1-line block ×3, first 2 shown]
	v_add_f64_e32 v[108:109], v[114:115], v[108:109]
	v_add_f64_e32 v[136:137], v[114:115], v[110:111]
	v_fma_f64 v[110:111], v[169:170], s[30:31], v[16:17]
	v_add_f64_e32 v[28:29], v[114:115], v[28:29]
	v_add_f64_e32 v[30:31], v[114:115], v[30:31]
	v_fma_f64 v[16:17], v[169:170], s[30:31], -v[16:17]
	v_add_f64_e32 v[6:7], v[6:7], v[211:212]
	v_add_f64_e64 v[4:5], v[213:214], -v[4:5]
	v_add_f64_e64 v[8:9], v[187:188], -v[8:9]
	v_add_f64_e32 v[108:109], v[110:111], v[108:109]
	v_fma_f64 v[110:111], v[165:166], s[30:31], -v[18:19]
	v_fma_f64 v[18:19], v[165:166], s[30:31], v[18:19]
	v_add_f64_e32 v[16:17], v[16:17], v[28:29]
	v_add_f64_e32 v[6:7], v[112:113], v[6:7]
	v_mul_f64_e32 v[112:113], s[34:35], v[183:184]
	v_add_f64_e32 v[4:5], v[114:115], v[4:5]
	v_add_f64_e32 v[8:9], v[114:115], v[8:9]
	;; [unrolled: 1-line block ×4, first 2 shown]
	v_mul_f64_e32 v[120:121], s[10:11], v[183:184]
	v_fma_f64 v[114:115], v[177:178], s[22:23], v[112:113]
	v_fma_f64 v[28:29], v[177:178], s[22:23], -v[112:113]
	v_fma_f64 v[112:113], v[193:194], s[24:25], v[148:149]
	s_delay_alu instid0(VALU_DEP_3) | instskip(SKIP_1) | instid1(VALU_DEP_4)
	v_add_f64_e32 v[108:109], v[114:115], v[108:109]
	v_mul_f64_e32 v[114:115], s[34:35], v[173:174]
	v_add_f64_e32 v[16:17], v[28:29], v[16:17]
	s_delay_alu instid0(VALU_DEP_2) | instskip(SKIP_1) | instid1(VALU_DEP_2)
	v_fma_f64 v[116:117], v[171:172], s[22:23], -v[114:115]
	v_fma_f64 v[28:29], v[171:172], s[22:23], v[114:115]
	v_add_f64_e32 v[110:111], v[116:117], v[110:111]
	s_wait_alu 0xfffe
	v_mul_f64_e32 v[116:117], s[40:41], v[197:198]
	s_delay_alu instid0(VALU_DEP_3) | instskip(NEXT) | instid1(VALU_DEP_2)
	v_add_f64_e32 v[18:19], v[28:29], v[18:19]
	v_fma_f64 v[118:119], v[185:186], s[2:3], v[116:117]
	v_fma_f64 v[28:29], v[185:186], s[2:3], -v[116:117]
	s_delay_alu instid0(VALU_DEP_2) | instskip(SKIP_1) | instid1(VALU_DEP_3)
	v_add_f64_e32 v[108:109], v[118:119], v[108:109]
	v_mul_f64_e32 v[118:119], s[40:41], v[181:182]
	v_add_f64_e32 v[16:17], v[28:29], v[16:17]
	s_delay_alu instid0(VALU_DEP_2) | instskip(SKIP_2) | instid1(VALU_DEP_3)
	v_fma_f64 v[124:125], v[179:180], s[2:3], -v[118:119]
	v_fma_f64 v[28:29], v[179:180], s[2:3], v[118:119]
	v_fma_f64 v[118:119], v[177:178], s[2:3], v[120:121]
	v_add_f64_e32 v[110:111], v[124:125], v[110:111]
	v_mul_f64_e32 v[124:125], s[16:17], v[201:202]
	s_delay_alu instid0(VALU_DEP_4) | instskip(NEXT) | instid1(VALU_DEP_2)
	v_add_f64_e32 v[18:19], v[28:29], v[18:19]
	v_fma_f64 v[126:127], v[191:192], s[14:15], v[124:125]
	v_fma_f64 v[28:29], v[191:192], s[14:15], -v[124:125]
	v_mul_f64_e32 v[124:125], s[10:11], v[173:174]
	s_delay_alu instid0(VALU_DEP_3) | instskip(SKIP_1) | instid1(VALU_DEP_4)
	v_add_f64_e32 v[108:109], v[126:127], v[108:109]
	v_mul_f64_e32 v[126:127], s[16:17], v[195:196]
	v_add_f64_e32 v[16:17], v[28:29], v[16:17]
	s_delay_alu instid0(VALU_DEP_2) | instskip(SKIP_2) | instid1(VALU_DEP_3)
	v_fma_f64 v[28:29], v[189:190], s[14:15], v[126:127]
	v_fma_f64 v[128:129], v[189:190], s[14:15], -v[126:127]
	v_mul_f64_e32 v[126:127], s[42:43], v[197:198]
	v_add_f64_e32 v[18:19], v[28:29], v[18:19]
	v_fma_f64 v[28:29], v[199:200], s[24:25], -v[134:135]
	s_delay_alu instid0(VALU_DEP_4) | instskip(SKIP_1) | instid1(VALU_DEP_4)
	v_add_f64_e32 v[128:129], v[128:129], v[110:111]
	v_fma_f64 v[110:111], v[199:200], s[24:25], v[134:135]
	v_add_f64_e32 v[112:113], v[112:113], v[18:19]
	s_delay_alu instid0(VALU_DEP_4) | instskip(SKIP_4) | instid1(VALU_DEP_4)
	v_add_f64_e32 v[114:115], v[28:29], v[16:17]
	v_mul_f64_e32 v[16:17], s[36:37], v[175:176]
	v_mul_f64_e32 v[28:29], s[36:37], v[167:168]
	v_add_f64_e32 v[110:111], v[110:111], v[108:109]
	v_fma_f64 v[108:109], v[193:194], s[24:25], -v[148:149]
	v_fma_f64 v[18:19], v[169:170], s[24:25], v[16:17]
	s_delay_alu instid0(VALU_DEP_4) | instskip(SKIP_1) | instid1(VALU_DEP_4)
	v_fma_f64 v[116:117], v[165:166], s[24:25], -v[28:29]
	v_fma_f64 v[16:17], v[169:170], s[24:25], -v[16:17]
	v_add_f64_e32 v[108:109], v[108:109], v[128:129]
	v_mul_f64_e32 v[128:129], s[42:43], v[181:182]
	v_fma_f64 v[28:29], v[165:166], s[24:25], v[28:29]
	v_add_f64_e32 v[18:19], v[18:19], v[136:137]
	v_add_f64_e32 v[116:117], v[116:117], v[130:131]
	;; [unrolled: 1-line block ×3, first 2 shown]
	v_fma_f64 v[30:31], v[177:178], s[2:3], -v[120:121]
	v_mul_f64_e32 v[130:131], s[16:17], v[205:206]
	v_add_f64_e32 v[28:29], v[28:29], v[122:123]
	v_add_f64_e32 v[18:19], v[118:119], v[18:19]
	v_fma_f64 v[118:119], v[171:172], s[2:3], -v[124:125]
	v_add_f64_e32 v[16:17], v[30:31], v[16:17]
	v_fma_f64 v[30:31], v[171:172], s[2:3], v[124:125]
	s_delay_alu instid0(VALU_DEP_3) | instskip(SKIP_1) | instid1(VALU_DEP_3)
	v_add_f64_e32 v[116:117], v[118:119], v[116:117]
	v_fma_f64 v[118:119], v[185:186], s[18:19], v[126:127]
	v_add_f64_e32 v[28:29], v[30:31], v[28:29]
	v_fma_f64 v[30:31], v[185:186], s[18:19], -v[126:127]
	s_delay_alu instid0(VALU_DEP_3) | instskip(SKIP_1) | instid1(VALU_DEP_3)
	v_add_f64_e32 v[18:19], v[118:119], v[18:19]
	v_fma_f64 v[118:119], v[179:180], s[18:19], -v[128:129]
	v_add_f64_e32 v[16:17], v[30:31], v[16:17]
	v_fma_f64 v[30:31], v[179:180], s[18:19], v[128:129]
	s_delay_alu instid0(VALU_DEP_3) | instskip(SKIP_2) | instid1(VALU_DEP_4)
	v_add_f64_e32 v[116:117], v[118:119], v[116:117]
	v_fma_f64 v[118:119], v[191:192], s[30:31], v[20:21]
	v_fma_f64 v[20:21], v[191:192], s[30:31], -v[20:21]
	v_add_f64_e32 v[28:29], v[30:31], v[28:29]
	v_mul_f64_e32 v[30:31], s[22:23], v[179:180]
	s_delay_alu instid0(VALU_DEP_4)
	v_add_f64_e32 v[18:19], v[118:119], v[18:19]
	v_fma_f64 v[118:119], v[189:190], s[30:31], -v[22:23]
	v_add_f64_e32 v[16:17], v[20:21], v[16:17]
	v_fma_f64 v[20:21], v[189:190], s[30:31], v[22:23]
	v_fma_f64 v[22:23], v[199:200], s[14:15], -v[130:131]
	v_add_f64_e32 v[30:31], v[30:31], v[217:218]
	v_add_f64_e32 v[116:117], v[118:119], v[116:117]
	v_fma_f64 v[118:119], v[199:200], s[14:15], v[130:131]
	v_add_f64_e32 v[20:21], v[20:21], v[28:29]
	v_add_f64_e32 v[122:123], v[22:23], v[16:17]
	v_mul_f64_e32 v[22:23], s[14:15], v[165:166]
	v_mul_f64_e32 v[16:17], s[20:21], v[183:184]
	;; [unrolled: 1-line block ×3, first 2 shown]
	v_add_f64_e32 v[118:119], v[118:119], v[18:19]
	v_mul_f64_e32 v[18:19], s[16:17], v[203:204]
	v_add_f64_e32 v[22:23], v[22:23], v[150:151]
	v_add_f64_e64 v[16:17], v[219:220], -v[16:17]
	v_add_f64_e64 v[28:29], v[223:224], -v[28:29]
	s_delay_alu instid0(VALU_DEP_4) | instskip(SKIP_2) | instid1(VALU_DEP_3)
	v_fma_f64 v[134:135], v[193:194], s[14:15], -v[18:19]
	v_fma_f64 v[18:19], v[193:194], s[14:15], v[18:19]
	v_add_f64_e32 v[10:11], v[22:23], v[10:11]
	v_add_f64_e32 v[116:117], v[134:135], v[116:117]
	s_delay_alu instid0(VALU_DEP_3) | instskip(SKIP_2) | instid1(VALU_DEP_2)
	v_add_f64_e32 v[120:121], v[18:19], v[20:21]
	v_mul_f64_e32 v[18:19], s[16:17], v[175:176]
	v_mul_f64_e32 v[20:21], s[18:19], v[171:172]
	v_add_f64_e64 v[18:19], v[152:153], -v[18:19]
	s_delay_alu instid0(VALU_DEP_2) | instskip(NEXT) | instid1(VALU_DEP_2)
	v_add_f64_e32 v[20:21], v[20:21], v[154:155]
	v_add_f64_e32 v[8:9], v[18:19], v[8:9]
	s_delay_alu instid0(VALU_DEP_2) | instskip(SKIP_2) | instid1(VALU_DEP_4)
	v_add_f64_e32 v[10:11], v[20:21], v[10:11]
	v_mul_f64_e32 v[18:19], s[36:37], v[201:202]
	v_mul_f64_e32 v[20:21], s[30:31], v[193:194]
	v_add_f64_e32 v[8:9], v[16:17], v[8:9]
	v_mul_f64_e32 v[16:17], s[24:25], v[189:190]
	v_add_f64_e32 v[10:11], v[30:31], v[10:11]
	v_add_f64_e64 v[18:19], v[229:230], -v[18:19]
	v_add_f64_e32 v[20:21], v[20:21], v[225:226]
	v_add_f64_e32 v[8:9], v[28:29], v[8:9]
	;; [unrolled: 1-line block ×3, first 2 shown]
	s_delay_alu instid0(VALU_DEP_2) | instskip(NEXT) | instid1(VALU_DEP_2)
	v_add_f64_e32 v[8:9], v[18:19], v[8:9]
	v_add_f64_e32 v[10:11], v[16:17], v[10:11]
	v_mul_f64_e32 v[16:17], s[18:19], v[165:166]
	v_mul_f64_e32 v[18:19], s[30:31], v[179:180]
	s_delay_alu instid0(VALU_DEP_4) | instskip(NEXT) | instid1(VALU_DEP_4)
	v_add_f64_e32 v[126:127], v[14:15], v[8:9]
	v_add_f64_e32 v[124:125], v[20:21], v[10:11]
	v_mul_f64_e32 v[10:11], s[20:21], v[175:176]
	v_mul_f64_e32 v[8:9], s[38:39], v[183:184]
	;; [unrolled: 1-line block ×3, first 2 shown]
	v_add_f64_e32 v[16:17], v[16:17], v[227:228]
	v_mul_f64_e32 v[20:21], s[10:11], v[201:202]
	v_add_f64_e32 v[18:19], v[18:19], v[237:238]
	v_add_f64_e64 v[10:11], v[231:232], -v[10:11]
	v_add_f64_e64 v[8:9], v[245:246], -v[8:9]
	v_add_f64_e32 v[14:15], v[14:15], v[235:236]
	v_add_f64_e32 v[6:7], v[16:17], v[6:7]
	v_add_f64_e64 v[20:21], v[247:248], -v[20:21]
	v_add_f64_e32 v[4:5], v[10:11], v[4:5]
	v_mul_f64_e32 v[10:11], s[2:3], v[189:190]
	s_delay_alu instid0(VALU_DEP_4) | instskip(NEXT) | instid1(VALU_DEP_3)
	v_add_f64_e32 v[6:7], v[14:15], v[6:7]
	v_add_f64_e32 v[4:5], v[8:9], v[4:5]
	v_mul_f64_e32 v[8:9], s[34:35], v[205:206]
	s_delay_alu instid0(VALU_DEP_4) | instskip(NEXT) | instid1(VALU_DEP_4)
	v_add_f64_e32 v[10:11], v[10:11], v[239:240]
	v_add_f64_e32 v[6:7], v[18:19], v[6:7]
	s_delay_alu instid0(VALU_DEP_4) | instskip(NEXT) | instid1(VALU_DEP_4)
	v_add_f64_e32 v[4:5], v[12:13], v[4:5]
	v_add_f64_e64 v[8:9], v[249:250], -v[8:9]
	v_mul_f64_e32 v[12:13], s[22:23], v[193:194]
	s_delay_alu instid0(VALU_DEP_4) | instskip(NEXT) | instid1(VALU_DEP_4)
	v_add_f64_e32 v[6:7], v[10:11], v[6:7]
	v_add_f64_e32 v[4:5], v[20:21], v[4:5]
	s_delay_alu instid0(VALU_DEP_3) | instskip(NEXT) | instid1(VALU_DEP_2)
	v_add_f64_e32 v[12:13], v[12:13], v[241:242]
	v_add_f64_e32 v[130:131], v[8:9], v[4:5]
	v_mul_f64_e32 v[4:5], s[28:29], v[175:176]
	s_delay_alu instid0(VALU_DEP_3) | instskip(SKIP_2) | instid1(VALU_DEP_4)
	v_add_f64_e32 v[128:129], v[12:13], v[6:7]
	v_mul_f64_e32 v[8:9], s[28:29], v[167:168]
	v_fma_f64 v[12:13], v[177:178], s[30:31], -v[24:25]
	v_fma_f64 v[6:7], v[169:170], s[22:23], -v[4:5]
	v_fma_f64 v[4:5], v[169:170], s[22:23], v[4:5]
	s_delay_alu instid0(VALU_DEP_4) | instskip(SKIP_1) | instid1(VALU_DEP_4)
	v_fma_f64 v[10:11], v[165:166], s[22:23], v[8:9]
	v_fma_f64 v[8:9], v[165:166], s[22:23], -v[8:9]
	v_add_f64_e32 v[6:7], v[6:7], v[32:33]
	s_delay_alu instid0(VALU_DEP_4) | instskip(NEXT) | instid1(VALU_DEP_4)
	v_add_f64_e32 v[4:5], v[4:5], v[138:139]
	v_add_f64_e32 v[10:11], v[10:11], v[132:133]
	s_delay_alu instid0(VALU_DEP_4) | instskip(NEXT) | instid1(VALU_DEP_4)
	v_add_f64_e32 v[8:9], v[8:9], v[140:141]
	v_add_f64_e32 v[6:7], v[12:13], v[6:7]
	v_fma_f64 v[12:13], v[171:172], s[30:31], v[26:27]
	s_delay_alu instid0(VALU_DEP_1) | instskip(SKIP_1) | instid1(VALU_DEP_1)
	v_add_f64_e32 v[10:11], v[12:13], v[10:11]
	v_mul_f64_e32 v[12:13], s[26:27], v[197:198]
	v_fma_f64 v[14:15], v[185:186], s[24:25], -v[12:13]
	s_delay_alu instid0(VALU_DEP_1) | instskip(SKIP_1) | instid1(VALU_DEP_1)
	v_add_f64_e32 v[6:7], v[14:15], v[6:7]
	v_mul_f64_e32 v[14:15], s[26:27], v[181:182]
	v_fma_f64 v[16:17], v[179:180], s[24:25], v[14:15]
	s_delay_alu instid0(VALU_DEP_1) | instskip(SKIP_1) | instid1(VALU_DEP_1)
	v_add_f64_e32 v[10:11], v[16:17], v[10:11]
	v_mul_f64_e32 v[16:17], s[42:43], v[201:202]
	v_fma_f64 v[18:19], v[191:192], s[18:19], -v[16:17]
	s_delay_alu instid0(VALU_DEP_1) | instskip(SKIP_1) | instid1(VALU_DEP_1)
	v_add_f64_e32 v[6:7], v[18:19], v[6:7]
	v_mul_f64_e32 v[18:19], s[42:43], v[195:196]
	;; [unrolled: 8-line block ×3, first 2 shown]
	v_fma_f64 v[22:23], v[193:194], s[2:3], v[6:7]
	v_fma_f64 v[6:7], v[193:194], s[2:3], -v[6:7]
	s_delay_alu instid0(VALU_DEP_2) | instskip(SKIP_1) | instid1(VALU_DEP_1)
	v_add_f64_e32 v[132:133], v[22:23], v[10:11]
	v_fma_f64 v[10:11], v[177:178], s[30:31], v[24:25]
	v_add_f64_e32 v[4:5], v[10:11], v[4:5]
	v_fma_f64 v[10:11], v[171:172], s[30:31], -v[26:27]
	v_mul_f64_e32 v[26:27], s[20:21], v[203:204]
	s_delay_alu instid0(VALU_DEP_2) | instskip(SKIP_2) | instid1(VALU_DEP_2)
	v_add_f64_e32 v[8:9], v[10:11], v[8:9]
	v_fma_f64 v[10:11], v[185:186], s[24:25], v[12:13]
	v_mul_f64_e32 v[12:13], s[26:27], v[183:184]
	v_add_f64_e32 v[4:5], v[10:11], v[4:5]
	v_fma_f64 v[10:11], v[179:180], s[24:25], -v[14:15]
	s_delay_alu instid0(VALU_DEP_3) | instskip(NEXT) | instid1(VALU_DEP_2)
	v_fma_f64 v[14:15], v[177:178], s[24:25], -v[12:13]
	v_add_f64_e32 v[8:9], v[10:11], v[8:9]
	v_fma_f64 v[10:11], v[191:192], s[18:19], v[16:17]
	s_delay_alu instid0(VALU_DEP_1) | instskip(SKIP_1) | instid1(VALU_DEP_1)
	v_add_f64_e32 v[4:5], v[10:11], v[4:5]
	v_fma_f64 v[10:11], v[189:190], s[18:19], -v[18:19]
	v_add_f64_e32 v[8:9], v[10:11], v[8:9]
	v_fma_f64 v[10:11], v[199:200], s[2:3], v[20:21]
	s_delay_alu instid0(VALU_DEP_2) | instskip(NEXT) | instid1(VALU_DEP_2)
	v_add_f64_e32 v[136:137], v[6:7], v[8:9]
	v_add_f64_e32 v[138:139], v[10:11], v[4:5]
	v_mul_f64_e32 v[4:5], s[10:11], v[175:176]
	v_mul_f64_e32 v[8:9], s[10:11], v[167:168]
	s_delay_alu instid0(VALU_DEP_2) | instskip(NEXT) | instid1(VALU_DEP_2)
	v_fma_f64 v[6:7], v[169:170], s[2:3], -v[4:5]
	v_fma_f64 v[10:11], v[165:166], s[2:3], v[8:9]
	v_fma_f64 v[4:5], v[169:170], s[2:3], v[4:5]
	s_delay_alu instid0(VALU_DEP_3) | instskip(NEXT) | instid1(VALU_DEP_3)
	v_add_f64_e32 v[6:7], v[6:7], v[34:35]
	v_add_f64_e32 v[10:11], v[10:11], v[142:143]
	s_delay_alu instid0(VALU_DEP_3) | instskip(NEXT) | instid1(VALU_DEP_3)
	v_add_f64_e32 v[4:5], v[4:5], v[144:145]
	v_add_f64_e32 v[6:7], v[14:15], v[6:7]
	v_mul_f64_e32 v[14:15], s[26:27], v[173:174]
	s_delay_alu instid0(VALU_DEP_1) | instskip(NEXT) | instid1(VALU_DEP_1)
	v_fma_f64 v[16:17], v[171:172], s[24:25], v[14:15]
	v_add_f64_e32 v[10:11], v[16:17], v[10:11]
	v_mul_f64_e32 v[16:17], s[16:17], v[197:198]
	s_delay_alu instid0(VALU_DEP_1) | instskip(NEXT) | instid1(VALU_DEP_1)
	v_fma_f64 v[18:19], v[185:186], s[14:15], -v[16:17]
	v_add_f64_e32 v[6:7], v[18:19], v[6:7]
	v_mul_f64_e32 v[18:19], s[16:17], v[181:182]
	s_delay_alu instid0(VALU_DEP_1) | instskip(NEXT) | instid1(VALU_DEP_1)
	v_fma_f64 v[20:21], v[179:180], s[14:15], v[18:19]
	v_add_f64_e32 v[10:11], v[20:21], v[10:11]
	v_mul_f64_e32 v[20:21], s[34:35], v[201:202]
	s_delay_alu instid0(VALU_DEP_1) | instskip(NEXT) | instid1(VALU_DEP_1)
	v_fma_f64 v[22:23], v[191:192], s[22:23], -v[20:21]
	;; [unrolled: 8-line block ×3, first 2 shown]
	v_add_f64_e32 v[142:143], v[28:29], v[6:7]
	v_fma_f64 v[6:7], v[193:194], s[18:19], v[26:27]
	s_delay_alu instid0(VALU_DEP_1)
	v_add_f64_e32 v[140:141], v[6:7], v[10:11]
	v_fma_f64 v[6:7], v[165:166], s[2:3], -v[8:9]
	v_fma_f64 v[8:9], v[177:178], s[24:25], v[12:13]
	v_fma_f64 v[12:13], v[185:186], s[14:15], v[16:17]
	v_fma_f64 v[10:11], v[171:172], s[24:25], -v[14:15]
	v_fma_f64 v[14:15], v[179:180], s[14:15], -v[18:19]
	v_add_f64_e32 v[6:7], v[6:7], v[146:147]
	v_add_f64_e32 v[4:5], v[8:9], v[4:5]
	v_fma_f64 v[8:9], v[191:192], s[22:23], v[20:21]
	s_delay_alu instid0(VALU_DEP_3) | instskip(NEXT) | instid1(VALU_DEP_3)
	v_add_f64_e32 v[6:7], v[10:11], v[6:7]
	v_add_f64_e32 v[4:5], v[12:13], v[4:5]
	v_fma_f64 v[12:13], v[199:200], s[18:19], v[24:25]
	v_fma_f64 v[10:11], v[189:190], s[22:23], -v[22:23]
	s_delay_alu instid0(VALU_DEP_4) | instskip(NEXT) | instid1(VALU_DEP_4)
	v_add_f64_e32 v[6:7], v[14:15], v[6:7]
	v_add_f64_e32 v[4:5], v[8:9], v[4:5]
	v_fma_f64 v[14:15], v[193:194], s[18:19], -v[26:27]
	s_delay_alu instid0(VALU_DEP_3) | instskip(NEXT) | instid1(VALU_DEP_3)
	v_add_f64_e32 v[6:7], v[10:11], v[6:7]
	v_add_f64_e32 v[146:147], v[12:13], v[4:5]
	scratch_load_b32 v4, off, off offset:28 th:TH_LOAD_LU ; 4-byte Folded Reload
	v_add_f64_e32 v[144:145], v[14:15], v[6:7]
	s_wait_loadcnt 0x0
	v_and_b32_e32 v4, 0xffff, v4
	s_delay_alu instid0(VALU_DEP_1)
	v_lshlrev_b32_e32 v4, 4, v4
	ds_store_b128 v4, v[124:127] offset:32
	ds_store_b128 v4, v[128:131] offset:48
	;; [unrolled: 1-line block ×11, first 2 shown]
	ds_store_b128 v4, v[0:3]
	ds_store_b128 v4, v[144:147] offset:192
.LBB0_21:
	s_or_b32 exec_lo, exec_lo, s33
	global_wb scope:SCOPE_SE
	s_wait_dscnt 0x0
	s_barrier_signal -1
	s_barrier_wait -1
	global_inv scope:SCOPE_SE
	ds_load_b128 v[0:3], v255
	ds_load_b128 v[108:111], v255 offset:2496
	ds_load_b128 v[124:127], v255 offset:16224
	;; [unrolled: 1-line block ×9, first 2 shown]
	s_and_saveexec_b32 s2, s0
	s_cbranch_execz .LBB0_23
; %bb.22:
	ds_load_b128 v[156:159], v255 offset:12480
	ds_load_b128 v[160:163], v255 offset:26208
.LBB0_23:
	s_wait_alu 0xfffe
	s_or_b32 exec_lo, exec_lo, s2
	s_clause 0x2
	scratch_load_b128 v[144:147], off, off offset:64 th:TH_LOAD_LU
	scratch_load_b128 v[32:35], off, off offset:48 th:TH_LOAD_LU
	;; [unrolled: 1-line block ×3, first 2 shown]
	s_wait_dscnt 0x1
	v_mul_f64_e32 v[16:17], v[46:47], v[138:139]
	v_mul_f64_e32 v[18:19], v[46:47], v[136:137]
	global_wb scope:SCOPE_SE
	s_wait_loadcnt_dscnt 0x0
	s_barrier_signal -1
	s_barrier_wait -1
	global_inv scope:SCOPE_SE
	v_mul_f64_e32 v[8:9], v[38:39], v[126:127]
	v_mul_f64_e32 v[10:11], v[38:39], v[124:125]
	;; [unrolled: 1-line block ×4, first 2 shown]
	v_fma_f64 v[16:17], v[44:45], v[136:137], v[16:17]
	v_fma_f64 v[18:19], v[44:45], v[138:139], -v[18:19]
	v_fma_f64 v[8:9], v[36:37], v[124:125], v[8:9]
	v_fma_f64 v[10:11], v[36:37], v[126:127], -v[10:11]
	;; [unrolled: 2-line block ×3, first 2 shown]
	s_delay_alu instid0(VALU_DEP_4) | instskip(NEXT) | instid1(VALU_DEP_4)
	v_add_f64_e64 v[124:125], v[108:109], -v[8:9]
	v_add_f64_e64 v[126:127], v[110:111], -v[10:11]
	s_delay_alu instid0(VALU_DEP_4) | instskip(NEXT) | instid1(VALU_DEP_4)
	v_add_f64_e64 v[128:129], v[116:117], -v[12:13]
	v_add_f64_e64 v[130:131], v[118:119], -v[14:15]
	s_delay_alu instid0(VALU_DEP_4) | instskip(NEXT) | instid1(VALU_DEP_4)
	v_fma_f64 v[108:109], v[108:109], 2.0, -v[124:125]
	v_fma_f64 v[110:111], v[110:111], 2.0, -v[126:127]
	s_delay_alu instid0(VALU_DEP_4) | instskip(NEXT) | instid1(VALU_DEP_4)
	v_fma_f64 v[116:117], v[116:117], 2.0, -v[128:129]
	v_fma_f64 v[118:119], v[118:119], 2.0, -v[130:131]
	v_mul_f64_e32 v[4:5], v[146:147], v[142:143]
	v_mul_f64_e32 v[6:7], v[146:147], v[140:141]
	;; [unrolled: 1-line block ×6, first 2 shown]
	v_fma_f64 v[4:5], v[144:145], v[140:141], v[4:5]
	v_fma_f64 v[6:7], v[144:145], v[142:143], -v[6:7]
	v_fma_f64 v[20:21], v[32:33], v[132:133], v[20:21]
	v_fma_f64 v[22:23], v[32:33], v[134:135], -v[22:23]
	;; [unrolled: 2-line block ×3, first 2 shown]
	v_add_f64_e64 v[24:25], v[112:113], -v[16:17]
	v_add_f64_e64 v[26:27], v[114:115], -v[18:19]
	v_add_f64_e64 v[44:45], v[0:1], -v[4:5]
	scratch_load_b32 v4, off, off offset:80 th:TH_LOAD_LU ; 4-byte Folded Reload
	v_add_f64_e64 v[46:47], v[2:3], -v[6:7]
	v_add_f64_e64 v[28:29], v[120:121], -v[20:21]
	;; [unrolled: 1-line block ×5, first 2 shown]
	v_fma_f64 v[132:133], v[0:1], 2.0, -v[44:45]
	v_fma_f64 v[0:1], v[112:113], 2.0, -v[24:25]
	;; [unrolled: 1-line block ×8, first 2 shown]
	s_wait_loadcnt 0x0
	ds_store_b128 v4, v[132:135]
	ds_store_b128 v4, v[44:47] offset:208
	scratch_load_b32 v4, off, off offset:100 th:TH_LOAD_LU ; 4-byte Folded Reload
	s_wait_loadcnt 0x0
	ds_store_b128 v4, v[108:111]
	ds_store_b128 v4, v[124:127] offset:208
	scratch_load_b32 v4, off, off offset:96 th:TH_LOAD_LU ; 4-byte Folded Reload
	;; [unrolled: 4-line block ×4, first 2 shown]
	s_wait_loadcnt 0x0
	ds_store_b128 v4, v[32:35]
	ds_store_b128 v4, v[28:31] offset:208
	s_and_saveexec_b32 s2, s0
	s_cbranch_execz .LBB0_25
; %bb.24:
	scratch_load_b32 v4, off, off offset:84 th:TH_LOAD_LU ; 4-byte Folded Reload
	s_wait_loadcnt 0x0
	v_and_b32_e32 v4, 0xffff, v4
	s_delay_alu instid0(VALU_DEP_1)
	v_lshlrev_b32_e32 v4, 4, v4
	ds_store_b128 v4, v[36:39]
	ds_store_b128 v4, v[40:43] offset:208
.LBB0_25:
	s_wait_alu 0xfffe
	s_or_b32 exec_lo, exec_lo, s2
	global_wb scope:SCOPE_SE
	s_wait_dscnt 0x0
	s_barrier_signal -1
	s_barrier_wait -1
	global_inv scope:SCOPE_SE
	ds_load_b128 v[44:47], v255
	ds_load_b128 v[108:111], v255 offset:4576
	ds_load_b128 v[112:115], v255 offset:9152
	;; [unrolled: 1-line block ×5, first 2 shown]
	s_and_saveexec_b32 s0, s1
	s_cbranch_execz .LBB0_27
; %bb.26:
	ds_load_b128 v[0:3], v255 offset:2496
	ds_load_b128 v[24:27], v255 offset:7072
	;; [unrolled: 1-line block ×6, first 2 shown]
.LBB0_27:
	s_wait_alu 0xfffe
	s_or_b32 exec_lo, exec_lo, s0
	s_wait_dscnt 0x2
	v_mul_f64_e32 v[4:5], v[66:67], v[120:121]
	s_wait_dscnt 0x0
	v_mul_f64_e32 v[6:7], v[70:71], v[124:125]
	v_mul_f64_e32 v[8:9], v[50:51], v[108:109]
	;; [unrolled: 1-line block ×9, first 2 shown]
	s_mov_b32 s2, 0xe8584caa
	s_mov_b32 s3, 0xbfebb67a
	s_mov_b32 s11, 0x3febb67a
	s_wait_alu 0xfffe
	s_mov_b32 s10, s2
	global_wb scope:SCOPE_SE
	s_barrier_signal -1
	s_barrier_wait -1
	global_inv scope:SCOPE_SE
	v_fma_f64 v[4:5], v[64:65], v[122:123], -v[4:5]
	v_fma_f64 v[6:7], v[68:69], v[126:127], -v[6:7]
	v_fma_f64 v[8:9], v[48:49], v[110:111], -v[8:9]
	v_fma_f64 v[10:11], v[64:65], v[120:121], v[10:11]
	v_fma_f64 v[12:13], v[68:69], v[124:125], v[12:13]
	;; [unrolled: 1-line block ×4, first 2 shown]
	v_fma_f64 v[18:19], v[56:57], v[114:115], -v[18:19]
	v_fma_f64 v[20:21], v[52:53], v[116:117], v[20:21]
	v_fma_f64 v[22:23], v[52:53], v[118:119], -v[22:23]
	v_add_f64_e32 v[50:51], v[4:5], v[6:7]
	v_add_f64_e64 v[58:59], v[4:5], -v[6:7]
	v_add_f64_e32 v[4:5], v[8:9], v[4:5]
	v_add_f64_e32 v[48:49], v[10:11], v[12:13]
	v_add_f64_e64 v[52:53], v[10:11], -v[12:13]
	v_add_f64_e32 v[10:11], v[14:15], v[10:11]
	v_add_f64_e32 v[54:55], v[16:17], v[20:21]
	;; [unrolled: 1-line block ×3, first 2 shown]
	v_add_f64_e64 v[66:67], v[18:19], -v[22:23]
	v_add_f64_e32 v[18:19], v[46:47], v[18:19]
	v_fma_f64 v[50:51], v[50:51], -0.5, v[8:9]
	v_add_f64_e32 v[4:5], v[4:5], v[6:7]
	v_fma_f64 v[48:49], v[48:49], -0.5, v[14:15]
	;; [unrolled: 2-line block ×3, first 2 shown]
	v_fma_f64 v[14:15], v[56:57], -0.5, v[46:47]
	v_add_f64_e32 v[18:19], v[18:19], v[22:23]
	s_wait_alu 0xfffe
	v_fma_f64 v[64:65], v[52:53], s[10:11], v[50:51]
	v_fma_f64 v[50:51], v[52:53], s[2:3], v[50:51]
	v_add_f64_e32 v[52:53], v[44:45], v[16:17]
	v_add_f64_e64 v[16:17], v[16:17], -v[20:21]
	v_fma_f64 v[44:45], v[58:59], s[2:3], v[48:49]
	v_fma_f64 v[46:47], v[58:59], s[10:11], v[48:49]
	;; [unrolled: 1-line block ×4, first 2 shown]
	v_mul_f64_e32 v[48:49], s[2:3], v[64:65]
	v_mul_f64_e32 v[56:57], 0.5, v[64:65]
	v_mul_f64_e32 v[54:55], s[2:3], v[50:51]
	v_mul_f64_e32 v[50:51], -0.5, v[50:51]
	v_add_f64_e32 v[20:21], v[52:53], v[20:21]
	v_fma_f64 v[12:13], v[16:17], s[10:11], v[14:15]
	v_fma_f64 v[14:15], v[16:17], s[2:3], v[14:15]
	v_fma_f64 v[16:17], v[44:45], 0.5, v[48:49]
	v_fma_f64 v[66:67], v[44:45], s[10:11], v[56:57]
	v_fma_f64 v[22:23], v[46:47], -0.5, v[54:55]
	v_fma_f64 v[70:71], v[46:47], s[10:11], v[50:51]
	v_add_f64_e32 v[44:45], v[20:21], v[10:11]
	v_add_f64_e32 v[46:47], v[18:19], v[4:5]
	v_add_f64_e64 v[48:49], v[20:21], -v[10:11]
	v_add_f64_e64 v[50:51], v[18:19], -v[4:5]
	v_add_f64_e32 v[52:53], v[6:7], v[16:17]
	v_add_f64_e32 v[54:55], v[12:13], v[66:67]
	;; [unrolled: 1-line block ×4, first 2 shown]
	v_add_f64_e64 v[64:65], v[6:7], -v[16:17]
	v_add_f64_e64 v[66:67], v[12:13], -v[66:67]
	;; [unrolled: 1-line block ×4, first 2 shown]
	ds_store_b128 v164, v[44:47]
	ds_store_b128 v164, v[52:55] offset:416
	ds_store_b128 v164, v[56:59] offset:832
	;; [unrolled: 1-line block ×5, first 2 shown]
	s_and_saveexec_b32 s0, s1
	s_cbranch_execz .LBB0_29
; %bb.28:
	s_clause 0x3
	scratch_load_b128 v[44:47], off, off offset:108 th:TH_LOAD_LU
	scratch_load_b128 v[50:53], off, off offset:140 th:TH_LOAD_LU
	;; [unrolled: 1-line block ×4, first 2 shown]
	s_wait_loadcnt 0x3
	v_mul_f64_e32 v[4:5], v[46:47], v[28:29]
	v_mul_f64_e32 v[8:9], v[46:47], v[30:31]
	scratch_load_b128 v[46:49], off, off offset:124 th:TH_LOAD_LU ; 16-byte Folded Reload
	s_wait_loadcnt 0x2
	v_mul_f64_e32 v[6:7], v[66:67], v[40:41]
	v_mul_f64_e32 v[10:11], v[66:67], v[42:43]
	;; [unrolled: 1-line block ×4, first 2 shown]
	s_wait_loadcnt 0x1
	v_mul_f64_e32 v[14:15], v[56:57], v[32:33]
	v_mul_f64_e32 v[18:19], v[56:57], v[34:35]
	v_fma_f64 v[4:5], v[44:45], v[30:31], -v[4:5]
	v_fma_f64 v[8:9], v[44:45], v[28:29], v[8:9]
	v_fma_f64 v[6:7], v[64:65], v[42:43], -v[6:7]
	v_fma_f64 v[10:11], v[64:65], v[40:41], v[10:11]
	v_fma_f64 v[16:17], v[50:51], v[38:39], -v[16:17]
	v_fma_f64 v[20:21], v[50:51], v[36:37], v[20:21]
	v_fma_f64 v[14:15], v[54:55], v[34:35], -v[14:15]
	v_fma_f64 v[18:19], v[54:55], v[32:33], v[18:19]
	v_add_f64_e64 v[32:33], v[4:5], -v[6:7]
	v_add_f64_e64 v[28:29], v[8:9], -v[10:11]
	s_delay_alu instid0(VALU_DEP_4) | instskip(NEXT) | instid1(VALU_DEP_4)
	v_add_f64_e32 v[30:31], v[14:15], v[16:17]
	v_add_f64_e32 v[34:35], v[18:19], v[20:21]
	;; [unrolled: 1-line block ×3, first 2 shown]
	s_delay_alu instid0(VALU_DEP_3) | instskip(SKIP_3) | instid1(VALU_DEP_2)
	v_fma_f64 v[2:3], v[30:31], -0.5, v[2:3]
	s_wait_loadcnt 0x0
	v_mul_f64_e32 v[12:13], v[48:49], v[24:25]
	v_mul_f64_e32 v[22:23], v[48:49], v[26:27]
	v_fma_f64 v[12:13], v[46:47], v[26:27], -v[12:13]
	v_add_f64_e32 v[26:27], v[4:5], v[6:7]
	s_delay_alu instid0(VALU_DEP_3) | instskip(SKIP_1) | instid1(VALU_DEP_4)
	v_fma_f64 v[22:23], v[46:47], v[24:25], v[22:23]
	v_add_f64_e32 v[24:25], v[8:9], v[10:11]
	v_add_f64_e32 v[4:5], v[12:13], v[4:5]
	s_delay_alu instid0(VALU_DEP_4) | instskip(SKIP_1) | instid1(VALU_DEP_4)
	v_fma_f64 v[26:27], v[26:27], -0.5, v[12:13]
	v_add_f64_e64 v[12:13], v[14:15], -v[16:17]
	v_fma_f64 v[24:25], v[24:25], -0.5, v[22:23]
	v_add_f64_e32 v[14:15], v[0:1], v[18:19]
	v_add_f64_e32 v[8:9], v[22:23], v[8:9]
	v_fma_f64 v[0:1], v[34:35], -0.5, v[0:1]
	v_add_f64_e32 v[16:17], v[38:39], v[16:17]
	v_add_f64_e32 v[4:5], v[4:5], v[6:7]
	v_fma_f64 v[36:37], v[28:29], s[2:3], v[26:27]
	v_fma_f64 v[26:27], v[28:29], s[10:11], v[26:27]
	v_add_f64_e64 v[28:29], v[18:19], -v[20:21]
	v_fma_f64 v[18:19], v[32:33], s[10:11], v[24:25]
	v_fma_f64 v[24:25], v[32:33], s[2:3], v[24:25]
	v_add_f64_e32 v[14:15], v[14:15], v[20:21]
	v_add_f64_e32 v[8:9], v[8:9], v[10:11]
	v_fma_f64 v[34:35], v[12:13], s[10:11], v[0:1]
	v_add_f64_e32 v[6:7], v[16:17], v[4:5]
	v_mul_f64_e32 v[22:23], -0.5, v[36:37]
	v_mul_f64_e32 v[30:31], 0.5, v[26:27]
	v_mul_f64_e32 v[26:27], s[2:3], v[26:27]
	v_mul_f64_e32 v[32:33], s[2:3], v[36:37]
	v_fma_f64 v[20:21], v[28:29], s[2:3], v[2:3]
	v_fma_f64 v[36:37], v[12:13], s[2:3], v[0:1]
	;; [unrolled: 1-line block ×3, first 2 shown]
	v_add_f64_e64 v[2:3], v[16:17], -v[4:5]
	v_add_f64_e64 v[0:1], v[14:15], -v[8:9]
	v_add_f64_e32 v[4:5], v[14:15], v[8:9]
	v_fma_f64 v[22:23], v[18:19], s[10:11], v[22:23]
	v_fma_f64 v[30:31], v[24:25], s[10:11], v[30:31]
	v_fma_f64 v[24:25], v[24:25], 0.5, v[26:27]
	v_fma_f64 v[26:27], v[18:19], -0.5, v[32:33]
	s_delay_alu instid0(VALU_DEP_4) | instskip(SKIP_1) | instid1(VALU_DEP_4)
	v_add_f64_e64 v[10:11], v[20:21], -v[22:23]
	v_add_f64_e32 v[14:15], v[20:21], v[22:23]
	v_add_f64_e32 v[16:17], v[36:37], v[24:25]
	v_add_f64_e64 v[20:21], v[36:37], -v[24:25]
	scratch_load_b32 v24, off, off offset:104 th:TH_LOAD_LU ; 4-byte Folded Reload
	v_add_f64_e32 v[18:19], v[28:29], v[30:31]
	v_add_f64_e32 v[12:13], v[34:35], v[26:27]
	v_add_f64_e64 v[22:23], v[28:29], -v[30:31]
	v_add_f64_e64 v[8:9], v[34:35], -v[26:27]
	s_wait_loadcnt 0x0
	v_and_b32_e32 v24, 0xffff, v24
	s_delay_alu instid0(VALU_DEP_1)
	v_lshlrev_b32_e32 v24, 4, v24
	ds_store_b128 v24, v[4:7]
	ds_store_b128 v24, v[16:19] offset:416
	ds_store_b128 v24, v[12:15] offset:832
	;; [unrolled: 1-line block ×5, first 2 shown]
.LBB0_29:
	s_wait_alu 0xfffe
	s_or_b32 exec_lo, exec_lo, s0
	global_wb scope:SCOPE_SE
	s_wait_dscnt 0x0
	s_barrier_signal -1
	s_barrier_wait -1
	global_inv scope:SCOPE_SE
	ds_load_b128 v[0:3], v255 offset:2496
	ds_load_b128 v[8:11], v255 offset:24960
	;; [unrolled: 1-line block ×10, first 2 shown]
	s_mov_b32 s0, 0xf8bb580b
	s_mov_b32 s2, 0x8764f0ba
	;; [unrolled: 1-line block ×14, first 2 shown]
	s_wait_dscnt 0x8
	v_mul_f64_e32 v[44:45], v[62:63], v[8:9]
	s_wait_dscnt 0x7
	v_mul_f64_e32 v[46:47], v[82:83], v[12:13]
	v_mul_f64_e32 v[4:5], v[78:79], v[2:3]
	;; [unrolled: 1-line block ×3, first 2 shown]
	s_wait_dscnt 0x6
	v_mul_f64_e32 v[48:49], v[74:75], v[16:17]
	v_mul_f64_e32 v[50:51], v[82:83], v[14:15]
	s_wait_dscnt 0x5
	v_mul_f64_e32 v[56:57], v[90:91], v[20:21]
	s_wait_dscnt 0x4
	v_mul_f64_e32 v[58:59], v[98:99], v[24:25]
	v_mul_f64_e32 v[64:65], v[90:91], v[22:23]
	;; [unrolled: 1-line block ×4, first 2 shown]
	s_wait_dscnt 0x1
	v_mul_f64_e32 v[78:79], v[94:95], v[36:37]
	v_mul_f64_e32 v[62:63], v[62:63], v[10:11]
	;; [unrolled: 1-line block ×6, first 2 shown]
	s_mov_b32 s27, 0xbfe82f19
	s_mov_b32 s29, 0xbfe4f49e
	;; [unrolled: 1-line block ×8, first 2 shown]
	s_wait_alu 0xfffe
	s_mov_b32 s10, s0
	s_mov_b32 s18, s14
	;; [unrolled: 1-line block ×8, first 2 shown]
	v_fma_f64 v[52:53], v[76:77], v[0:1], v[4:5]
	v_fma_f64 v[54:55], v[76:77], v[2:3], -v[6:7]
	ds_load_b128 v[0:3], v255
	v_mul_f64_e32 v[76:77], v[94:95], v[38:39]
	s_wait_dscnt 0x1
	v_mul_f64_e32 v[94:95], v[102:103], v[40:41]
	v_fma_f64 v[4:5], v[60:61], v[10:11], -v[44:45]
	v_fma_f64 v[44:45], v[80:81], v[14:15], -v[46:47]
	v_fma_f64 v[6:7], v[72:73], v[18:19], -v[48:49]
	v_fma_f64 v[18:19], v[80:81], v[12:13], v[50:51]
	v_mul_f64_e32 v[90:91], v[102:103], v[42:43]
	v_fma_f64 v[22:23], v[88:89], v[22:23], -v[56:57]
	v_fma_f64 v[12:13], v[96:97], v[26:27], -v[58:59]
	v_fma_f64 v[20:21], v[88:89], v[20:21], v[64:65]
	v_fma_f64 v[14:15], v[96:97], v[24:25], v[70:71]
	;; [unrolled: 1-line block ×5, first 2 shown]
	v_fma_f64 v[24:25], v[84:85], v[30:31], -v[74:75]
	v_fma_f64 v[28:29], v[92:93], v[38:39], -v[78:79]
	v_fma_f64 v[30:31], v[104:105], v[32:33], v[82:83]
	v_fma_f64 v[32:33], v[104:105], v[34:35], -v[86:87]
	s_wait_dscnt 0x0
	v_add_f64_e32 v[46:47], v[0:1], v[52:53]
	v_add_f64_e32 v[48:49], v[2:3], v[54:55]
	v_fma_f64 v[26:27], v[92:93], v[36:37], v[76:77]
	v_fma_f64 v[36:37], v[100:101], v[42:43], -v[94:95]
	v_add_f64_e64 v[38:39], v[54:55], -v[4:5]
	v_add_f64_e64 v[42:43], v[44:45], -v[6:7]
	v_add_f64_e32 v[50:51], v[44:45], v[6:7]
	v_fma_f64 v[34:35], v[100:101], v[40:41], v[90:91]
	v_add_f64_e32 v[40:41], v[54:55], v[4:5]
	v_add_f64_e32 v[54:55], v[22:23], v[12:13]
	;; [unrolled: 1-line block ×3, first 2 shown]
	v_add_f64_e64 v[62:63], v[20:21], -v[14:15]
	v_add_f64_e32 v[56:57], v[52:53], v[8:9]
	v_add_f64_e64 v[52:53], v[52:53], -v[8:9]
	v_add_f64_e32 v[58:59], v[18:19], v[10:11]
	v_add_f64_e32 v[66:67], v[24:25], v[28:29]
	v_add_f64_e64 v[68:69], v[24:25], -v[28:29]
	v_add_f64_e32 v[46:47], v[46:47], v[18:19]
	v_add_f64_e32 v[44:45], v[48:49], v[44:45]
	v_add_f64_e64 v[48:49], v[22:23], -v[12:13]
	v_add_f64_e32 v[64:65], v[16:17], v[26:27]
	v_add_f64_e32 v[74:75], v[32:33], v[36:37]
	v_mul_f64_e32 v[80:81], s[0:1], v[38:39]
	v_mul_f64_e32 v[84:85], s[14:15], v[38:39]
	v_mul_f64_e32 v[88:89], s[20:21], v[38:39]
	v_mul_f64_e32 v[92:93], s[26:27], v[38:39]
	v_mul_f64_e32 v[38:39], s[34:35], v[38:39]
	v_mul_f64_e32 v[82:83], s[2:3], v[40:41]
	v_mul_f64_e32 v[86:87], s[16:17], v[40:41]
	v_mul_f64_e32 v[90:91], s[22:23], v[40:41]
	v_mul_f64_e32 v[94:95], s[28:29], v[40:41]
	v_mul_f64_e32 v[40:41], s[36:37], v[40:41]
	v_add_f64_e64 v[70:71], v[16:17], -v[26:27]
	v_add_f64_e64 v[18:19], v[18:19], -v[10:11]
	v_mul_f64_e32 v[96:97], s[14:15], v[42:43]
	v_mul_f64_e32 v[98:99], s[16:17], v[50:51]
	;; [unrolled: 1-line block ×4, first 2 shown]
	s_wait_alu 0xfffe
	v_mul_f64_e32 v[104:105], s[24:25], v[42:43]
	v_mul_f64_e32 v[106:107], s[22:23], v[50:51]
	;; [unrolled: 1-line block ×6, first 2 shown]
	v_add_f64_e32 v[72:73], v[30:31], v[34:35]
	v_add_f64_e64 v[76:77], v[30:31], -v[34:35]
	v_add_f64_e64 v[78:79], v[32:33], -v[36:37]
	v_mul_f64_e32 v[54:55], s[28:29], v[54:55]
	v_mul_f64_e32 v[124:125], s[26:27], v[68:69]
	;; [unrolled: 1-line block ×8, first 2 shown]
	v_add_f64_e32 v[20:21], v[46:47], v[20:21]
	v_add_f64_e32 v[22:23], v[44:45], v[22:23]
	v_mul_f64_e32 v[44:45], s[28:29], v[50:51]
	v_mul_f64_e32 v[46:47], s[38:39], v[42:43]
	;; [unrolled: 1-line block ×6, first 2 shown]
	v_fma_f64 v[156:157], v[56:57], s[16:17], v[84:85]
	v_fma_f64 v[84:85], v[56:57], s[16:17], -v[84:85]
	v_fma_f64 v[160:161], v[56:57], s[22:23], v[88:89]
	v_fma_f64 v[158:159], v[52:53], s[18:19], v[86:87]
	;; [unrolled: 1-line block ×3, first 2 shown]
	v_fma_f64 v[88:89], v[56:57], s[22:23], -v[88:89]
	v_fma_f64 v[164:165], v[56:57], s[28:29], v[92:93]
	v_fma_f64 v[166:167], v[52:53], s[30:31], v[94:95]
	v_mul_f64_e32 v[42:43], s[10:11], v[42:43]
	v_mul_f64_e32 v[50:51], s[2:3], v[50:51]
	v_fma_f64 v[92:93], v[56:57], s[28:29], -v[92:93]
	v_fma_f64 v[168:169], v[56:57], s[36:37], v[38:39]
	v_fma_f64 v[170:171], v[52:53], s[38:39], v[40:41]
	v_fma_f64 v[38:39], v[56:57], s[36:37], -v[38:39]
	v_fma_f64 v[40:41], v[52:53], s[34:35], v[40:41]
	v_fma_f64 v[94:95], v[52:53], s[26:27], v[94:95]
	;; [unrolled: 1-line block ×4, first 2 shown]
	v_mul_f64_e32 v[108:109], s[20:21], v[48:49]
	v_mul_f64_e32 v[112:113], s[38:39], v[48:49]
	v_fma_f64 v[172:173], v[58:59], s[28:29], v[100:101]
	v_mul_f64_e32 v[116:117], s[18:19], v[48:49]
	v_fma_f64 v[100:101], v[58:59], s[28:29], -v[100:101]
	v_fma_f64 v[178:179], v[18:19], s[34:35], v[102:103]
	v_mul_f64_e32 v[120:121], s[0:1], v[48:49]
	v_fma_f64 v[180:181], v[58:59], s[22:23], v[104:105]
	v_fma_f64 v[182:183], v[18:19], s[20:21], v[106:107]
	v_mul_f64_e32 v[48:49], s[26:27], v[48:49]
	v_fma_f64 v[104:105], v[58:59], s[22:23], -v[104:105]
	v_fma_f64 v[102:103], v[18:19], s[38:39], v[102:103]
	v_add_f64_e32 v[16:17], v[20:21], v[16:17]
	v_add_f64_e32 v[20:21], v[22:23], v[24:25]
	v_mul_f64_e32 v[22:23], s[22:23], v[74:75]
	v_fma_f64 v[24:25], v[56:57], s[2:3], v[80:81]
	v_fma_f64 v[74:75], v[52:53], s[10:11], v[82:83]
	v_fma_f64 v[80:81], v[56:57], s[2:3], -v[80:81]
	v_fma_f64 v[82:83], v[52:53], s[0:1], v[82:83]
	v_fma_f64 v[52:53], v[58:59], s[16:17], v[96:97]
	;; [unrolled: 1-line block ×3, first 2 shown]
	v_fma_f64 v[96:97], v[58:59], s[16:17], -v[96:97]
	v_fma_f64 v[98:99], v[18:19], s[14:15], v[98:99]
	v_fma_f64 v[174:175], v[18:19], s[30:31], v[44:45]
	v_add_f64_e32 v[156:157], v[0:1], v[156:157]
	v_add_f64_e32 v[158:159], v[2:3], v[158:159]
	v_fma_f64 v[176:177], v[58:59], s[36:37], v[46:47]
	v_add_f64_e32 v[84:85], v[0:1], v[84:85]
	v_add_f64_e32 v[160:161], v[0:1], v[160:161]
	;; [unrolled: 1-line block ×3, first 2 shown]
	v_fma_f64 v[46:47], v[58:59], s[36:37], -v[46:47]
	v_add_f64_e32 v[88:89], v[0:1], v[88:89]
	v_add_f64_e32 v[164:165], v[0:1], v[164:165]
	;; [unrolled: 1-line block ×6, first 2 shown]
	v_fma_f64 v[44:45], v[18:19], s[26:27], v[44:45]
	v_add_f64_e32 v[90:91], v[2:3], v[90:91]
	v_add_f64_e32 v[86:87], v[2:3], v[86:87]
	v_fma_f64 v[184:185], v[60:61], s[36:37], v[112:113]
	v_fma_f64 v[186:187], v[62:63], s[34:35], v[114:115]
	;; [unrolled: 1-line block ×4, first 2 shown]
	v_mul_f64_e32 v[138:139], s[36:37], v[66:67]
	v_mul_f64_e32 v[68:69], s[18:19], v[68:69]
	;; [unrolled: 1-line block ×3, first 2 shown]
	v_fma_f64 v[116:117], v[60:61], s[16:17], -v[116:117]
	v_fma_f64 v[118:119], v[62:63], s[18:19], v[118:119]
	v_fma_f64 v[112:113], v[60:61], s[36:37], -v[112:113]
	v_add_f64_e32 v[16:17], v[16:17], v[30:31]
	v_add_f64_e32 v[20:21], v[20:21], v[32:33]
	v_fma_f64 v[30:31], v[18:19], s[24:25], v[106:107]
	v_add_f64_e32 v[24:25], v[0:1], v[24:25]
	v_fma_f64 v[32:33], v[58:59], s[2:3], v[42:43]
	v_add_f64_e32 v[80:81], v[0:1], v[80:81]
	v_add_f64_e32 v[82:83], v[2:3], v[82:83]
	v_fma_f64 v[106:107], v[18:19], s[0:1], v[50:51]
	v_fma_f64 v[42:43], v[58:59], s[2:3], -v[42:43]
	v_fma_f64 v[18:19], v[18:19], s[10:11], v[50:51]
	v_add_f64_e32 v[0:1], v[0:1], v[38:39]
	v_add_f64_e32 v[38:39], v[2:3], v[40:41]
	;; [unrolled: 1-line block ×4, first 2 shown]
	v_fma_f64 v[50:51], v[60:61], s[22:23], v[108:109]
	v_fma_f64 v[58:59], v[62:63], s[24:25], v[110:111]
	v_fma_f64 v[108:109], v[60:61], s[22:23], -v[108:109]
	v_fma_f64 v[110:111], v[62:63], s[20:21], v[110:111]
	v_add_f64_e32 v[84:85], v[100:101], v[84:85]
	v_add_f64_e32 v[100:101], v[178:179], v[162:163]
	;; [unrolled: 1-line block ×4, first 2 shown]
	v_fma_f64 v[74:75], v[60:61], s[2:3], -v[120:121]
	v_fma_f64 v[94:95], v[62:63], s[0:1], v[122:123]
	v_add_f64_e32 v[92:93], v[104:105], v[92:93]
	v_fma_f64 v[114:115], v[62:63], s[38:39], v[114:115]
	v_mul_f64_e32 v[144:145], s[10:11], v[78:79]
	v_fma_f64 v[192:193], v[64:65], s[22:23], v[128:129]
	v_fma_f64 v[194:195], v[70:71], s[20:21], v[130:131]
	v_mul_f64_e32 v[140:141], s[34:35], v[78:79]
	v_mul_f64_e32 v[148:149], s[26:27], v[78:79]
	;; [unrolled: 1-line block ×4, first 2 shown]
	v_fma_f64 v[128:129], v[64:65], s[22:23], -v[128:129]
	v_fma_f64 v[130:131], v[70:71], s[24:25], v[130:131]
	v_add_f64_e32 v[16:17], v[16:17], v[34:35]
	v_add_f64_e32 v[20:21], v[20:21], v[36:37]
	v_fma_f64 v[34:35], v[60:61], s[2:3], v[120:121]
	v_add_f64_e32 v[24:25], v[52:53], v[24:25]
	v_fma_f64 v[36:37], v[62:63], s[10:11], v[122:123]
	v_add_f64_e32 v[52:53], v[96:97], v[80:81]
	v_add_f64_e32 v[80:81], v[98:99], v[82:83]
	;; [unrolled: 1-line block ×6, first 2 shown]
	v_fma_f64 v[120:121], v[60:61], s[28:29], v[48:49]
	v_fma_f64 v[122:123], v[62:63], s[30:31], v[54:55]
	v_add_f64_e32 v[32:33], v[32:33], v[168:169]
	v_add_f64_e32 v[104:105], v[106:107], v[170:171]
	v_fma_f64 v[48:49], v[60:61], s[28:29], -v[48:49]
	v_fma_f64 v[54:55], v[62:63], s[26:27], v[54:55]
	v_add_f64_e32 v[0:1], v[42:43], v[0:1]
	v_add_f64_e32 v[18:19], v[18:19], v[38:39]
	;; [unrolled: 1-line block ×6, first 2 shown]
	v_fma_f64 v[60:61], v[64:65], s[28:29], v[124:125]
	v_fma_f64 v[62:63], v[70:71], s[30:31], v[126:127]
	v_fma_f64 v[124:125], v[64:65], s[28:29], -v[124:125]
	v_fma_f64 v[126:127], v[70:71], s[26:27], v[126:127]
	v_fma_f64 v[56:57], v[64:65], s[36:37], v[136:137]
	;; [unrolled: 1-line block ×3, first 2 shown]
	v_fma_f64 v[42:43], v[64:65], s[2:3], -v[132:133]
	v_fma_f64 v[90:91], v[64:65], s[36:37], -v[136:137]
	v_fma_f64 v[106:107], v[64:65], s[16:17], v[68:69]
	v_add_f64_e32 v[46:47], v[116:117], v[46:47]
	v_add_f64_e32 v[74:75], v[74:75], v[92:93]
	v_fma_f64 v[102:103], v[70:71], s[34:35], v[138:139]
	v_fma_f64 v[44:45], v[70:71], s[0:1], v[134:135]
	v_add_f64_e32 v[84:85], v[112:113], v[84:85]
	v_fma_f64 v[136:137], v[76:77], s[34:35], v[142:143]
	v_add_f64_e32 v[16:17], v[16:17], v[26:27]
	v_add_f64_e32 v[20:21], v[20:21], v[28:29]
	v_fma_f64 v[26:27], v[64:65], s[2:3], v[132:133]
	v_add_f64_e32 v[24:25], v[50:51], v[24:25]
	v_fma_f64 v[28:29], v[70:71], s[10:11], v[134:135]
	v_add_f64_e32 v[50:51], v[108:109], v[52:53]
	v_add_f64_e32 v[52:53], v[110:111], v[80:81]
	;; [unrolled: 1-line block ×8, first 2 shown]
	v_fma_f64 v[132:133], v[70:71], s[14:15], v[66:67]
	v_add_f64_e32 v[32:33], v[120:121], v[32:33]
	v_add_f64_e32 v[88:89], v[122:123], v[104:105]
	v_fma_f64 v[64:65], v[64:65], s[16:17], -v[68:69]
	v_fma_f64 v[66:67], v[70:71], s[18:19], v[66:67]
	v_add_f64_e32 v[0:1], v[48:49], v[0:1]
	v_add_f64_e32 v[18:19], v[54:55], v[18:19]
	v_add_f64_e32 v[30:31], v[94:95], v[30:31]
	v_add_f64_e32 v[38:39], v[118:119], v[38:39]
	v_add_f64_e32 v[40:41], v[114:115], v[40:41]
	v_add_f64_e32 v[2:3], v[58:59], v[2:3]
	v_fma_f64 v[70:71], v[76:77], s[38:39], v[142:143]
	v_fma_f64 v[54:55], v[76:77], s[10:11], v[146:147]
	;; [unrolled: 1-line block ×8, first 2 shown]
	v_fma_f64 v[134:135], v[72:73], s[36:37], -v[140:141]
	v_fma_f64 v[58:59], v[72:73], s[28:29], v[148:149]
	v_fma_f64 v[104:105], v[72:73], s[16:17], v[152:153]
	;; [unrolled: 1-line block ×3, first 2 shown]
	v_add_f64_e32 v[42:43], v[42:43], v[46:47]
	v_add_f64_e32 v[46:47], v[90:91], v[74:75]
	;; [unrolled: 1-line block ×4, first 2 shown]
	v_fma_f64 v[16:17], v[72:73], s[2:3], v[144:145]
	v_fma_f64 v[20:21], v[76:77], s[0:1], v[146:147]
	v_fma_f64 v[76:77], v[76:77], s[20:21], v[22:23]
	v_add_f64_e32 v[22:23], v[60:61], v[24:25]
	v_add_f64_e32 v[24:25], v[124:125], v[50:51]
	;; [unrolled: 1-line block ×11, first 2 shown]
	v_fma_f64 v[48:49], v[72:73], s[2:3], -v[144:145]
	v_fma_f64 v[94:95], v[72:73], s[28:29], -v[148:149]
	;; [unrolled: 1-line block ×4, first 2 shown]
	v_add_f64_e32 v[64:65], v[64:65], v[0:1]
	v_add_f64_e32 v[66:67], v[66:67], v[18:19]
	;; [unrolled: 1-line block ×31, first 2 shown]
	ds_store_b128 v255, v[14:17] offset:4992
	ds_store_b128 v255, v[22:25] offset:7488
	;; [unrolled: 1-line block ×9, first 2 shown]
	ds_store_b128 v255, v[6:9]
	ds_store_b128 v255, v[0:3] offset:2496
	global_wb scope:SCOPE_SE
	s_wait_dscnt 0x0
	s_barrier_signal -1
	s_barrier_wait -1
	global_inv scope:SCOPE_SE
	s_and_b32 exec_lo, exec_lo, vcc_lo
	s_cbranch_execz .LBB0_31
; %bb.30:
	s_clause 0xb
	global_load_b128 v[0:3], v255, s[8:9]
	global_load_b128 v[4:7], v255, s[8:9] offset:2112
	global_load_b128 v[8:11], v255, s[8:9] offset:4224
	global_load_b128 v[12:15], v255, s[8:9] offset:6336
	global_load_b128 v[16:19], v255, s[8:9] offset:8448
	global_load_b128 v[20:23], v255, s[8:9] offset:10560
	global_load_b128 v[24:27], v255, s[8:9] offset:12672
	global_load_b128 v[28:31], v255, s[8:9] offset:14784
	global_load_b128 v[32:35], v255, s[8:9] offset:16896
	global_load_b128 v[36:39], v255, s[8:9] offset:19008
	global_load_b128 v[40:43], v255, s[8:9] offset:21120
	global_load_b128 v[44:47], v255, s[8:9] offset:23232
	s_clause 0x1
	scratch_load_b64 v[48:49], off, off offset:4 th:TH_LOAD_LU
	scratch_load_b32 v65, off, off th:TH_LOAD_LU
	s_mul_u64 s[0:1], s[4:5], 0x840
	s_mov_b32 s2, 0x58e9ebb6
	s_mov_b32 s3, 0x3f431877
	s_wait_loadcnt 0x1
	v_mov_b32_e32 v49, v48
	s_wait_loadcnt 0x0
	v_mad_co_u64_u32 v[100:101], null, s4, v65, 0
	s_delay_alu instid0(VALU_DEP_2) | instskip(NEXT) | instid1(VALU_DEP_1)
	v_mad_co_u64_u32 v[88:89], null, s6, v49, 0
	v_mov_b32_e32 v48, v89
	s_delay_alu instid0(VALU_DEP_1) | instskip(NEXT) | instid1(VALU_DEP_4)
	v_mad_co_u64_u32 v[72:73], null, s7, v49, v[48:49]
	v_mov_b32_e32 v64, v101
	ds_load_b128 v[48:51], v255
	ds_load_b128 v[52:55], v255 offset:2112
	ds_load_b128 v[56:59], v255 offset:4224
	;; [unrolled: 1-line block ×3, first 2 shown]
	v_mov_b32_e32 v89, v72
	v_mad_co_u64_u32 v[90:91], null, s5, v65, v[64:65]
	ds_load_b128 v[64:67], v255 offset:8448
	ds_load_b128 v[68:71], v255 offset:10560
	;; [unrolled: 1-line block ×6, first 2 shown]
	v_lshlrev_b64_e32 v[102:103], 4, v[88:89]
	v_mov_b32_e32 v101, v90
	ds_load_b128 v[88:91], v255 offset:21120
	ds_load_b128 v[92:95], v255 offset:23232
	;; [unrolled: 1-line block ×3, first 2 shown]
	v_add_co_u32 v126, vcc_lo, s12, v102
	v_add_co_ci_u32_e32 v127, vcc_lo, s13, v103, vcc_lo
	s_wait_dscnt 0xc
	v_mul_f64_e32 v[102:103], v[50:51], v[2:3]
	v_mul_f64_e32 v[2:3], v[48:49], v[2:3]
	s_wait_dscnt 0xb
	v_mul_f64_e32 v[104:105], v[54:55], v[6:7]
	v_mul_f64_e32 v[6:7], v[52:53], v[6:7]
	;; [unrolled: 3-line block ×12, first 2 shown]
	v_lshlrev_b64_e32 v[100:101], 4, v[100:101]
	s_delay_alu instid0(VALU_DEP_1) | instskip(SKIP_1) | instid1(VALU_DEP_2)
	v_add_co_u32 v100, vcc_lo, v126, v100
	s_wait_alu 0xfffd
	v_add_co_ci_u32_e32 v101, vcc_lo, v127, v101, vcc_lo
	s_wait_alu 0xfffe
	s_delay_alu instid0(VALU_DEP_2) | instskip(SKIP_1) | instid1(VALU_DEP_2)
	v_add_co_u32 v126, vcc_lo, v100, s0
	s_wait_alu 0xfffd
	v_add_co_ci_u32_e32 v127, vcc_lo, s1, v101, vcc_lo
	v_fma_f64 v[48:49], v[48:49], v[0:1], v[102:103]
	v_fma_f64 v[2:3], v[0:1], v[50:51], -v[2:3]
	v_fma_f64 v[50:51], v[52:53], v[4:5], v[104:105]
	v_fma_f64 v[6:7], v[4:5], v[54:55], -v[6:7]
	;; [unrolled: 2-line block ×12, first 2 shown]
	v_add_co_u32 v128, vcc_lo, v126, s0
	s_wait_alu 0xfffd
	v_add_co_ci_u32_e32 v129, vcc_lo, s1, v127, vcc_lo
	s_delay_alu instid0(VALU_DEP_2) | instskip(SKIP_1) | instid1(VALU_DEP_2)
	v_add_co_u32 v72, vcc_lo, v128, s0
	s_wait_alu 0xfffd
	v_add_co_ci_u32_e32 v73, vcc_lo, s1, v129, vcc_lo
	s_delay_alu instid0(VALU_DEP_2) | instskip(SKIP_1) | instid1(VALU_DEP_2)
	v_add_co_u32 v74, vcc_lo, v72, s0
	s_wait_alu 0xfffd
	v_add_co_ci_u32_e32 v75, vcc_lo, s1, v73, vcc_lo
	v_mul_f64_e32 v[0:1], s[2:3], v[48:49]
	v_mul_f64_e32 v[2:3], s[2:3], v[2:3]
	v_mul_f64_e32 v[4:5], s[2:3], v[50:51]
	v_mul_f64_e32 v[6:7], s[2:3], v[6:7]
	v_mul_f64_e32 v[8:9], s[2:3], v[52:53]
	v_mul_f64_e32 v[10:11], s[2:3], v[10:11]
	v_mul_f64_e32 v[12:13], s[2:3], v[54:55]
	v_mul_f64_e32 v[14:15], s[2:3], v[14:15]
	v_mul_f64_e32 v[16:17], s[2:3], v[56:57]
	v_mul_f64_e32 v[18:19], s[2:3], v[18:19]
	v_mul_f64_e32 v[20:21], s[2:3], v[58:59]
	v_mul_f64_e32 v[22:23], s[2:3], v[22:23]
	v_add_co_u32 v76, vcc_lo, v74, s0
	v_mul_f64_e32 v[24:25], s[2:3], v[60:61]
	v_mul_f64_e32 v[26:27], s[2:3], v[26:27]
	;; [unrolled: 1-line block ×4, first 2 shown]
	s_wait_alu 0xfffd
	v_add_co_ci_u32_e32 v77, vcc_lo, s1, v75, vcc_lo
	v_mul_f64_e32 v[32:33], s[2:3], v[64:65]
	v_mul_f64_e32 v[34:35], s[2:3], v[34:35]
	;; [unrolled: 1-line block ×8, first 2 shown]
	v_add_co_u32 v48, vcc_lo, v76, s0
	s_wait_alu 0xfffd
	v_add_co_ci_u32_e32 v49, vcc_lo, s1, v77, vcc_lo
	s_delay_alu instid0(VALU_DEP_2) | instskip(SKIP_1) | instid1(VALU_DEP_2)
	v_add_co_u32 v50, vcc_lo, v48, s0
	s_wait_alu 0xfffd
	v_add_co_ci_u32_e32 v51, vcc_lo, s1, v49, vcc_lo
	s_delay_alu instid0(VALU_DEP_2) | instskip(SKIP_1) | instid1(VALU_DEP_2)
	;; [unrolled: 4-line block ×5, first 2 shown]
	v_add_co_u32 v58, vcc_lo, v56, s0
	s_wait_alu 0xfffd
	v_add_co_ci_u32_e32 v59, vcc_lo, s1, v57, vcc_lo
	s_clause 0x4
	global_store_b128 v[100:101], v[0:3], off
	global_store_b128 v[126:127], v[4:7], off
	;; [unrolled: 1-line block ×12, first 2 shown]
	global_load_b128 v[0:3], v255, s[8:9] offset:25344
	s_wait_loadcnt_dscnt 0x0
	v_mul_f64_e32 v[4:5], v[98:99], v[2:3]
	v_mul_f64_e32 v[2:3], v[96:97], v[2:3]
	s_delay_alu instid0(VALU_DEP_2) | instskip(NEXT) | instid1(VALU_DEP_2)
	v_fma_f64 v[4:5], v[96:97], v[0:1], v[4:5]
	v_fma_f64 v[2:3], v[0:1], v[98:99], -v[2:3]
	s_delay_alu instid0(VALU_DEP_2) | instskip(NEXT) | instid1(VALU_DEP_2)
	v_mul_f64_e32 v[0:1], s[2:3], v[4:5]
	v_mul_f64_e32 v[2:3], s[2:3], v[2:3]
	v_add_co_u32 v4, vcc_lo, v58, s0
	s_wait_alu 0xfffd
	v_add_co_ci_u32_e32 v5, vcc_lo, s1, v59, vcc_lo
	global_store_b128 v[4:5], v[0:3], off
.LBB0_31:
	s_endpgm
	.section	.rodata,"a",@progbits
	.p2align	6, 0x0
	.amdhsa_kernel bluestein_single_fwd_len1716_dim1_dp_op_CI_CI
		.amdhsa_group_segment_fixed_size 27456
		.amdhsa_private_segment_fixed_size 192
		.amdhsa_kernarg_size 104
		.amdhsa_user_sgpr_count 2
		.amdhsa_user_sgpr_dispatch_ptr 0
		.amdhsa_user_sgpr_queue_ptr 0
		.amdhsa_user_sgpr_kernarg_segment_ptr 1
		.amdhsa_user_sgpr_dispatch_id 0
		.amdhsa_user_sgpr_private_segment_size 0
		.amdhsa_wavefront_size32 1
		.amdhsa_uses_dynamic_stack 0
		.amdhsa_enable_private_segment 1
		.amdhsa_system_sgpr_workgroup_id_x 1
		.amdhsa_system_sgpr_workgroup_id_y 0
		.amdhsa_system_sgpr_workgroup_id_z 0
		.amdhsa_system_sgpr_workgroup_info 0
		.amdhsa_system_vgpr_workitem_id 0
		.amdhsa_next_free_vgpr 256
		.amdhsa_next_free_sgpr 46
		.amdhsa_reserve_vcc 1
		.amdhsa_float_round_mode_32 0
		.amdhsa_float_round_mode_16_64 0
		.amdhsa_float_denorm_mode_32 3
		.amdhsa_float_denorm_mode_16_64 3
		.amdhsa_fp16_overflow 0
		.amdhsa_workgroup_processor_mode 1
		.amdhsa_memory_ordered 1
		.amdhsa_forward_progress 0
		.amdhsa_round_robin_scheduling 0
		.amdhsa_exception_fp_ieee_invalid_op 0
		.amdhsa_exception_fp_denorm_src 0
		.amdhsa_exception_fp_ieee_div_zero 0
		.amdhsa_exception_fp_ieee_overflow 0
		.amdhsa_exception_fp_ieee_underflow 0
		.amdhsa_exception_fp_ieee_inexact 0
		.amdhsa_exception_int_div_zero 0
	.end_amdhsa_kernel
	.text
.Lfunc_end0:
	.size	bluestein_single_fwd_len1716_dim1_dp_op_CI_CI, .Lfunc_end0-bluestein_single_fwd_len1716_dim1_dp_op_CI_CI
                                        ; -- End function
	.section	.AMDGPU.csdata,"",@progbits
; Kernel info:
; codeLenInByte = 20136
; NumSgprs: 48
; NumVgprs: 256
; ScratchSize: 192
; MemoryBound: 0
; FloatMode: 240
; IeeeMode: 1
; LDSByteSize: 27456 bytes/workgroup (compile time only)
; SGPRBlocks: 5
; VGPRBlocks: 31
; NumSGPRsForWavesPerEU: 48
; NumVGPRsForWavesPerEU: 256
; Occupancy: 5
; WaveLimiterHint : 1
; COMPUTE_PGM_RSRC2:SCRATCH_EN: 1
; COMPUTE_PGM_RSRC2:USER_SGPR: 2
; COMPUTE_PGM_RSRC2:TRAP_HANDLER: 0
; COMPUTE_PGM_RSRC2:TGID_X_EN: 1
; COMPUTE_PGM_RSRC2:TGID_Y_EN: 0
; COMPUTE_PGM_RSRC2:TGID_Z_EN: 0
; COMPUTE_PGM_RSRC2:TIDIG_COMP_CNT: 0
	.text
	.p2alignl 7, 3214868480
	.fill 96, 4, 3214868480
	.type	__hip_cuid_1aee741160e68c8b,@object ; @__hip_cuid_1aee741160e68c8b
	.section	.bss,"aw",@nobits
	.globl	__hip_cuid_1aee741160e68c8b
__hip_cuid_1aee741160e68c8b:
	.byte	0                               ; 0x0
	.size	__hip_cuid_1aee741160e68c8b, 1

	.ident	"AMD clang version 19.0.0git (https://github.com/RadeonOpenCompute/llvm-project roc-6.4.0 25133 c7fe45cf4b819c5991fe208aaa96edf142730f1d)"
	.section	".note.GNU-stack","",@progbits
	.addrsig
	.addrsig_sym __hip_cuid_1aee741160e68c8b
	.amdgpu_metadata
---
amdhsa.kernels:
  - .args:
      - .actual_access:  read_only
        .address_space:  global
        .offset:         0
        .size:           8
        .value_kind:     global_buffer
      - .actual_access:  read_only
        .address_space:  global
        .offset:         8
        .size:           8
        .value_kind:     global_buffer
      - .actual_access:  read_only
        .address_space:  global
        .offset:         16
        .size:           8
        .value_kind:     global_buffer
      - .actual_access:  read_only
        .address_space:  global
        .offset:         24
        .size:           8
        .value_kind:     global_buffer
      - .actual_access:  read_only
        .address_space:  global
        .offset:         32
        .size:           8
        .value_kind:     global_buffer
      - .offset:         40
        .size:           8
        .value_kind:     by_value
      - .address_space:  global
        .offset:         48
        .size:           8
        .value_kind:     global_buffer
      - .address_space:  global
        .offset:         56
        .size:           8
        .value_kind:     global_buffer
      - .address_space:  global
        .offset:         64
        .size:           8
        .value_kind:     global_buffer
      - .address_space:  global
        .offset:         72
        .size:           8
        .value_kind:     global_buffer
      - .offset:         80
        .size:           4
        .value_kind:     by_value
      - .address_space:  global
        .offset:         88
        .size:           8
        .value_kind:     global_buffer
      - .address_space:  global
        .offset:         96
        .size:           8
        .value_kind:     global_buffer
    .group_segment_fixed_size: 27456
    .kernarg_segment_align: 8
    .kernarg_segment_size: 104
    .language:       OpenCL C
    .language_version:
      - 2
      - 0
    .max_flat_workgroup_size: 156
    .name:           bluestein_single_fwd_len1716_dim1_dp_op_CI_CI
    .private_segment_fixed_size: 192
    .sgpr_count:     48
    .sgpr_spill_count: 0
    .symbol:         bluestein_single_fwd_len1716_dim1_dp_op_CI_CI.kd
    .uniform_work_group_size: 1
    .uses_dynamic_stack: false
    .vgpr_count:     256
    .vgpr_spill_count: 51
    .wavefront_size: 32
    .workgroup_processor_mode: 1
amdhsa.target:   amdgcn-amd-amdhsa--gfx1201
amdhsa.version:
  - 1
  - 2
...

	.end_amdgpu_metadata
